;; amdgpu-corpus repo=ROCm/rocFFT kind=compiled arch=gfx950 opt=O3
	.text
	.amdgcn_target "amdgcn-amd-amdhsa--gfx950"
	.amdhsa_code_object_version 6
	.protected	bluestein_single_fwd_len500_dim1_sp_op_CI_CI ; -- Begin function bluestein_single_fwd_len500_dim1_sp_op_CI_CI
	.globl	bluestein_single_fwd_len500_dim1_sp_op_CI_CI
	.p2align	8
	.type	bluestein_single_fwd_len500_dim1_sp_op_CI_CI,@function
bluestein_single_fwd_len500_dim1_sp_op_CI_CI: ; @bluestein_single_fwd_len500_dim1_sp_op_CI_CI
; %bb.0:
	s_load_dwordx4 s[8:11], s[0:1], 0x28
	v_mul_u32_u24_e32 v1, 0x290, v0
	v_add_u32_sdwa v44, s2, v1 dst_sel:DWORD dst_unused:UNUSED_PAD src0_sel:DWORD src1_sel:WORD_1
	v_mov_b32_e32 v45, 0
	s_waitcnt lgkmcnt(0)
	v_cmp_gt_u64_e32 vcc, s[8:9], v[44:45]
	s_and_saveexec_b64 s[2:3], vcc
	s_cbranch_execz .LBB0_23
; %bb.1:
	s_load_dwordx2 s[8:9], s[0:1], 0x0
	s_load_dwordx2 s[12:13], s[0:1], 0x38
	s_movk_i32 s2, 0x64
	v_mul_lo_u16_sdwa v1, v1, s2 dst_sel:DWORD dst_unused:UNUSED_PAD src0_sel:WORD_1 src1_sel:DWORD
	v_sub_u16_e32 v45, v0, v1
	v_cmp_gt_u16_e32 vcc, 50, v45
	v_lshlrev_b32_e32 v66, 3, v45
	s_and_saveexec_b64 s[2:3], vcc
	s_cbranch_execz .LBB0_3
; %bb.2:
	s_load_dwordx2 s[4:5], s[0:1], 0x18
	v_mov_b32_e32 v0, s10
	v_mov_b32_e32 v1, s11
	;; [unrolled: 1-line block ×3, first 2 shown]
	v_add_u32_e32 v42, 0x800, v66
	s_waitcnt lgkmcnt(0)
	s_load_dwordx4 s[4:7], s[4:5], 0x0
	s_waitcnt lgkmcnt(0)
	v_mad_u64_u32 v[2:3], s[10:11], s6, v44, 0
	v_mad_u64_u32 v[4:5], s[10:11], s4, v45, 0
	v_mov_b32_e32 v6, v3
	v_mov_b32_e32 v8, v5
	v_mad_u64_u32 v[6:7], s[6:7], s7, v44, v[6:7]
	v_mov_b32_e32 v3, v6
	v_mad_u64_u32 v[6:7], s[6:7], s5, v45, v[8:9]
	v_mov_b32_e32 v5, v6
	v_lshl_add_u64 v[0:1], v[2:3], 3, v[0:1]
	v_lshl_add_u64 v[0:1], v[4:5], 3, v[0:1]
	global_load_dwordx2 v[2:3], v[0:1], off
	v_mad_u64_u32 v[0:1], s[6:7], s4, v38, v[0:1]
	s_mul_i32 s10, s5, 0x190
	v_add_u32_e32 v1, s10, v1
	global_load_dwordx2 v[4:5], v[0:1], off
	global_load_dwordx2 v[6:7], v66, s[8:9]
	v_mad_u64_u32 v[0:1], s[6:7], s4, v38, v[0:1]
	v_add_u32_e32 v1, s10, v1
	v_mad_u64_u32 v[10:11], s[6:7], s4, v38, v[0:1]
	v_add_u32_e32 v11, s10, v11
	global_load_dwordx2 v[8:9], v66, s[8:9] offset:400
	global_load_dwordx2 v[12:13], v66, s[8:9] offset:800
	;; [unrolled: 1-line block ×3, first 2 shown]
	global_load_dwordx2 v[16:17], v[0:1], off
	v_mad_u64_u32 v[0:1], s[6:7], s4, v38, v[10:11]
	v_add_u32_e32 v1, s10, v1
	global_load_dwordx2 v[18:19], v[10:11], off
	global_load_dwordx2 v[20:21], v[0:1], off
	v_mad_u64_u32 v[0:1], s[6:7], s4, v38, v[0:1]
	v_add_u32_e32 v1, s10, v1
	global_load_dwordx2 v[10:11], v66, s[8:9] offset:1600
	global_load_dwordx2 v[22:23], v[0:1], off
	v_mad_u64_u32 v[0:1], s[6:7], s4, v38, v[0:1]
	v_add_u32_e32 v1, s10, v1
	global_load_dwordx2 v[26:27], v[0:1], off
	v_mad_u64_u32 v[0:1], s[6:7], s4, v38, v[0:1]
	global_load_dwordx2 v[24:25], v66, s[8:9] offset:2000
	global_load_dwordx2 v[28:29], v66, s[8:9] offset:2400
	v_add_u32_e32 v1, s10, v1
	global_load_dwordx2 v[30:31], v[0:1], off
	global_load_dwordx2 v[32:33], v66, s[8:9] offset:2800
	v_mad_u64_u32 v[0:1], s[6:7], s4, v38, v[0:1]
	v_add_u32_e32 v1, s10, v1
	global_load_dwordx2 v[34:35], v[0:1], off
	global_load_dwordx2 v[36:37], v66, s[8:9] offset:3200
	v_mad_u64_u32 v[0:1], s[4:5], s4, v38, v[0:1]
	v_add_u32_e32 v1, s10, v1
	global_load_dwordx2 v[38:39], v66, s[8:9] offset:3600
	global_load_dwordx2 v[40:41], v[0:1], off
	s_waitcnt vmcnt(17)
	v_mul_f32_e32 v0, v3, v7
	v_mul_f32_e32 v1, v2, v7
	v_fmac_f32_e32 v0, v2, v6
	v_fma_f32 v1, v3, v6, -v1
	s_waitcnt vmcnt(16)
	v_mul_f32_e32 v2, v5, v9
	v_mul_f32_e32 v3, v4, v9
	v_fmac_f32_e32 v2, v4, v8
	v_fma_f32 v3, v5, v8, -v3
	ds_write2_b64 v66, v[0:1], v[2:3] offset1:50
	s_waitcnt vmcnt(13)
	v_mul_f32_e32 v0, v17, v13
	v_mul_f32_e32 v1, v16, v13
	s_waitcnt vmcnt(12)
	v_mul_f32_e32 v2, v19, v15
	v_mul_f32_e32 v3, v18, v15
	v_fmac_f32_e32 v0, v16, v12
	v_fma_f32 v1, v17, v12, -v1
	v_fmac_f32_e32 v2, v18, v14
	v_fma_f32 v3, v19, v14, -v3
	ds_write2_b64 v66, v[0:1], v[2:3] offset0:100 offset1:150
	s_waitcnt vmcnt(10)
	v_mul_f32_e32 v0, v21, v11
	v_mul_f32_e32 v1, v20, v11
	s_waitcnt vmcnt(7)
	v_mul_f32_e32 v2, v23, v25
	v_mul_f32_e32 v3, v22, v25
	v_fmac_f32_e32 v0, v20, v10
	v_fma_f32 v1, v21, v10, -v1
	v_fmac_f32_e32 v2, v22, v24
	v_fma_f32 v3, v23, v24, -v3
	ds_write2_b64 v66, v[0:1], v[2:3] offset0:200 offset1:250
	;; [unrolled: 11-line block ×4, first 2 shown]
.LBB0_3:
	s_or_b64 exec, exec, s[2:3]
	s_load_dwordx2 s[2:3], s[0:1], 0x20
	s_load_dwordx2 s[4:5], s[0:1], 0x8
	s_waitcnt lgkmcnt(0)
	s_barrier
	s_waitcnt lgkmcnt(0)
                                        ; implicit-def: $vgpr0
                                        ; implicit-def: $vgpr4
                                        ; implicit-def: $vgpr8
                                        ; implicit-def: $vgpr12
                                        ; implicit-def: $vgpr16
	s_and_saveexec_b64 s[0:1], vcc
	s_cbranch_execz .LBB0_5
; %bb.4:
	ds_read2_b64 v[0:3], v66 offset1:50
	ds_read2_b64 v[4:7], v66 offset0:100 offset1:150
	ds_read2_b64 v[8:11], v66 offset0:200 offset1:250
	v_add_u32_e32 v16, 0x800, v66
	ds_read2_b64 v[12:15], v16 offset0:44 offset1:94
	ds_read2_b64 v[16:19], v16 offset0:144 offset1:194
.LBB0_5:
	s_or_b64 exec, exec, s[0:1]
	s_waitcnt lgkmcnt(1)
	v_pk_add_f32 v[24:25], v[8:9], v[12:13]
	s_waitcnt lgkmcnt(0)
	v_pk_add_f32 v[26:27], v[4:5], v[16:17] neg_lo:[0,1] neg_hi:[0,1]
	s_mov_b32 s14, 0x3f737871
	v_pk_fma_f32 v[24:25], v[24:25], 0.5, v[0:1] op_sel_hi:[1,0,1] neg_lo:[1,0,0] neg_hi:[1,0,0]
	v_pk_mul_f32 v[28:29], v[26:27], s[14:15] op_sel_hi:[1,0]
	v_pk_add_f32 v[30:31], v[8:9], v[12:13] neg_lo:[0,1] neg_hi:[0,1]
	s_mov_b32 s10, 0x3f167918
	v_pk_add_f32 v[34:35], v[4:5], v[8:9] neg_lo:[0,1] neg_hi:[0,1]
	v_pk_add_f32 v[36:37], v[16:17], v[12:13] neg_lo:[0,1] neg_hi:[0,1]
	v_pk_add_f32 v[20:21], v[0:1], v[4:5]
	v_pk_mul_f32 v[32:33], v[30:31], s[10:11] op_sel_hi:[1,0]
	v_pk_add_f32 v[34:35], v[34:35], v[36:37]
	v_pk_add_f32 v[36:37], v[24:25], v[28:29] op_sel:[0,1] op_sel_hi:[1,0]
	v_pk_add_f32 v[24:25], v[24:25], v[28:29] op_sel:[0,1] op_sel_hi:[1,0] neg_lo:[0,1] neg_hi:[0,1]
	v_pk_add_f32 v[20:21], v[20:21], v[8:9]
	v_pk_add_f32 v[28:29], v[24:25], v[32:33] op_sel:[0,1] op_sel_hi:[1,0] neg_lo:[0,1] neg_hi:[0,1]
	v_pk_add_f32 v[32:33], v[36:37], v[32:33] op_sel:[0,1] op_sel_hi:[1,0]
	v_pk_add_f32 v[36:37], v[4:5], v[16:17]
	v_pk_add_f32 v[4:5], v[8:9], v[4:5] neg_lo:[0,1] neg_hi:[0,1]
	v_pk_add_f32 v[8:9], v[12:13], v[16:17] neg_lo:[0,1] neg_hi:[0,1]
	v_pk_add_f32 v[20:21], v[20:21], v[12:13]
	v_pk_fma_f32 v[0:1], v[36:37], 0.5, v[0:1] op_sel_hi:[1,0,1] neg_lo:[1,0,0] neg_hi:[1,0,0]
	v_pk_add_f32 v[8:9], v[4:5], v[8:9]
	v_pk_add_f32 v[36:37], v[10:11], v[14:15] neg_lo:[0,1] neg_hi:[0,1]
	v_pk_add_f32 v[4:5], v[6:7], v[18:19]
	v_pk_add_f32 v[20:21], v[20:21], v[16:17]
	v_pk_add_f32 v[16:17], v[6:7], v[18:19] neg_lo:[0,1] neg_hi:[0,1]
	v_pk_fma_f32 v[4:5], v[4:5], 0.5, v[2:3] op_sel_hi:[1,0,1] neg_lo:[1,0,0] neg_hi:[1,0,0]
	v_pk_mul_f32 v[12:13], v[36:37], s[14:15] op_sel_hi:[1,0]
	v_pk_add_f32 v[40:41], v[10:11], v[6:7] neg_lo:[0,1] neg_hi:[0,1]
	v_pk_add_f32 v[42:43], v[14:15], v[18:19] neg_lo:[0,1] neg_hi:[0,1]
	v_pk_mul_f32 v[38:39], v[16:17], s[10:11] op_sel_hi:[1,0]
	v_pk_add_f32 v[40:41], v[40:41], v[42:43]
	v_pk_add_f32 v[42:43], v[4:5], v[12:13] op_sel:[0,1] op_sel_hi:[1,0] neg_lo:[0,1] neg_hi:[0,1]
	v_pk_add_f32 v[4:5], v[4:5], v[12:13] op_sel:[0,1] op_sel_hi:[1,0]
	s_mov_b32 s6, 0x3e9e377a
	v_pk_add_f32 v[12:13], v[4:5], v[38:39] op_sel:[0,1] op_sel_hi:[1,0] neg_lo:[0,1] neg_hi:[0,1]
	v_pk_add_f32 v[38:39], v[42:43], v[38:39] op_sel:[0,1] op_sel_hi:[1,0]
	v_mov_b32_e32 v5, v13
	v_mov_b32_e32 v4, v38
	v_pk_fma_f32 v[42:43], v[40:41], s[6:7], v[4:5] op_sel_hi:[1,0,1]
	v_pk_mul_f32 v[4:5], v[30:31], s[14:15] op_sel_hi:[1,0]
	v_pk_mul_f32 v[26:27], v[26:27], s[10:11] op_sel_hi:[1,0]
	v_pk_add_f32 v[30:31], v[0:1], v[4:5] op_sel:[0,1] op_sel_hi:[1,0] neg_lo:[0,1] neg_hi:[0,1]
	v_pk_add_f32 v[0:1], v[0:1], v[4:5] op_sel:[0,1] op_sel_hi:[1,0]
	v_mov_b32_e32 v13, v39
	v_pk_add_f32 v[46:47], v[0:1], v[26:27] op_sel:[0,1] op_sel_hi:[1,0] neg_lo:[0,1] neg_hi:[0,1]
	v_pk_add_f32 v[26:27], v[30:31], v[26:27] op_sel:[0,1] op_sel_hi:[1,0]
	v_pk_fma_f32 v[12:13], v[40:41], s[6:7], v[12:13] op_sel_hi:[1,0,1]
	v_mov_b32_e32 v0, v26
	v_mov_b32_e32 v1, v47
	;; [unrolled: 1-line block ×3, first 2 shown]
	s_mov_b32 s0, 0xbf737871
	s_mov_b32 s1, s14
	v_pk_mul_f32 v[26:27], v[12:13], s[6:7] op_sel_hi:[1,0]
	v_pk_add_f32 v[22:23], v[2:3], v[6:7]
	v_pk_fma_f32 v[12:13], v[12:13], s[0:1], v[26:27] op_sel:[0,0,1] op_sel_hi:[1,1,0] neg_lo:[0,0,1] neg_hi:[0,0,1]
	v_pk_add_f32 v[26:27], v[10:11], v[14:15]
	v_pk_add_f32 v[22:23], v[22:23], v[10:11]
	v_pk_fma_f32 v[26:27], v[26:27], 0.5, v[2:3] op_sel_hi:[1,0,1] neg_lo:[1,0,0] neg_hi:[1,0,0]
	v_pk_add_f32 v[2:3], v[6:7], v[10:11] neg_lo:[0,1] neg_hi:[0,1]
	v_pk_mul_f32 v[10:11], v[16:17], s[14:15] op_sel_hi:[1,0]
	v_pk_add_f32 v[22:23], v[22:23], v[14:15]
	v_pk_add_f32 v[6:7], v[18:19], v[14:15] neg_lo:[0,1] neg_hi:[0,1]
	v_pk_add_f32 v[14:15], v[26:27], v[10:11] op_sel:[0,1] op_sel_hi:[1,0]
	v_pk_mul_f32 v[16:17], v[36:37], s[10:11] op_sel_hi:[1,0]
	v_pk_add_f32 v[6:7], v[2:3], v[6:7]
	v_pk_add_f32 v[14:15], v[16:17], v[14:15] op_sel:[1,0] op_sel_hi:[0,1]
	v_pk_add_f32 v[10:11], v[26:27], v[10:11] op_sel:[0,1] op_sel_hi:[1,0] neg_lo:[0,1] neg_hi:[0,1]
	v_pk_add_f32 v[22:23], v[22:23], v[18:19]
	v_pk_fma_f32 v[18:19], v[6:7], s[6:7], v[14:15] op_sel_hi:[1,0,1]
	v_pk_add_f32 v[10:11], v[10:11], v[16:17] op_sel:[0,1] op_sel_hi:[1,0] neg_lo:[0,1] neg_hi:[0,1]
	s_mov_b32 s0, 0x3f4f1bbd
	s_mov_b32 s1, s10
	v_pk_fma_f32 v[16:17], v[6:7], s[6:7], v[10:11] op_sel_hi:[1,0,1]
	v_mov_b32_e32 v11, v15
	v_pk_mul_f32 v[14:15], v[18:19], s[0:1] op_sel_hi:[0,1]
	s_mov_b32 s11, s0
	v_pk_mul_f32 v[30:31], v[42:43], s[14:15] op_sel_hi:[1,0]
	v_pk_fma_f32 v[6:7], v[6:7], s[6:7], v[10:11] op_sel_hi:[1,0,1]
	v_pk_fma_f32 v[10:11], v[16:17], s[10:11], v[14:15] op_sel:[1,0,0]
	v_pk_fma_f32 v[14:15], v[16:17], s[10:11], v[14:15] op_sel:[1,0,0] neg_lo:[0,0,1] neg_hi:[0,0,1]
	v_mov_b32_e32 v24, v32
	v_mov_b32_e32 v25, v29
	v_pk_fma_f32 v[4:5], v[42:43], s[6:7], v[30:31] op_sel:[0,0,1] op_sel_hi:[1,0,0]
	v_pk_fma_f32 v[30:31], v[42:43], s[6:7], v[30:31] op_sel:[0,0,1] op_sel_hi:[1,0,0] neg_lo:[0,0,1] neg_hi:[0,0,1]
	v_mov_b32_e32 v29, v33
	v_mov_b32_e32 v11, v15
	s_mov_b32 s16, 0xbf167918
	s_mov_b32 s17, s10
	v_pk_mul_f32 v[14:15], v[6:7], s[0:1] op_sel_hi:[1,0]
	v_pk_fma_f32 v[24:25], v[34:35], s[6:7], v[24:25] op_sel_hi:[1,0,1]
	v_pk_fma_f32 v[0:1], v[8:9], s[6:7], v[0:1] op_sel_hi:[1,0,1]
	v_mov_b32_e32 v5, v31
	v_pk_fma_f32 v[8:9], v[8:9], s[6:7], v[46:47] op_sel_hi:[1,0,1]
	v_pk_fma_f32 v[2:3], v[34:35], s[6:7], v[28:29] op_sel_hi:[1,0,1]
	v_pk_fma_f32 v[6:7], v[6:7], s[16:17], v[14:15] op_sel:[0,0,1] op_sel_hi:[1,1,0] neg_lo:[0,0,1] neg_hi:[0,0,1]
	v_pk_add_f32 v[26:27], v[20:21], v[22:23] neg_lo:[0,1] neg_hi:[0,1]
	v_pk_add_f32 v[32:33], v[24:25], v[10:11] neg_lo:[0,1] neg_hi:[0,1]
	;; [unrolled: 1-line block ×3, first 2 shown]
	v_pk_add_f32 v[28:29], v[8:9], v[12:13] op_sel:[0,1] op_sel_hi:[1,0] neg_lo:[0,1] neg_hi:[0,1]
	v_pk_add_f32 v[48:49], v[2:3], v[6:7] op_sel:[1,0] op_sel_hi:[0,1] neg_lo:[0,1] neg_hi:[0,1]
	v_mul_lo_u16_e32 v67, 10, v45
	s_barrier
	s_and_saveexec_b64 s[0:1], vcc
	s_cbranch_execz .LBB0_7
; %bb.6:
	v_mov_b32_e32 v16, v13
	v_mov_b32_e32 v17, v12
	;; [unrolled: 1-line block ×4, first 2 shown]
	v_lshlrev_b32_e32 v36, 3, v67
	v_pk_add_f32 v[0:1], v[0:1], v[4:5]
	v_pk_add_f32 v[2:3], v[8:9], v[16:17]
	ds_write_b128 v36, v[0:3] offset:16
	v_pk_add_f32 v[0:1], v[18:19], v[6:7]
	v_pk_add_f32 v[12:13], v[20:21], v[22:23]
	;; [unrolled: 1-line block ×3, first 2 shown]
	v_mov_b32_e32 v24, v1
	v_mov_b32_e32 v25, v0
	;; [unrolled: 1-line block ×4, first 2 shown]
	ds_write_b128 v36, v[12:15]
	ds_write_b128 v36, v[24:27] offset:32
	ds_write_b128 v36, v[32:35] offset:48
	;; [unrolled: 1-line block ×3, first 2 shown]
.LBB0_7:
	s_or_b64 exec, exec, s[0:1]
	s_movk_i32 s7, 0xcd
	v_mul_lo_u16_sdwa v0, v45, s7 dst_sel:DWORD dst_unused:UNUSED_PAD src0_sel:BYTE_0 src1_sel:DWORD
	v_lshrrev_b16_e32 v18, 11, v0
	v_mul_lo_u16_e32 v0, 10, v18
	v_sub_u16_e32 v0, v45, v0
	v_and_b32_e32 v19, 0xff, v0
	v_lshlrev_b32_e32 v8, 5, v19
	s_load_dwordx4 s[0:3], s[2:3], 0x0
	s_waitcnt lgkmcnt(0)
	s_barrier
	global_load_dwordx4 v[0:3], v8, s[4:5]
	global_load_dwordx4 v[4:7], v8, s[4:5] offset:16
	v_add_u32_e32 v12, 0x400, v66
	ds_read2_b64 v[8:11], v66 offset1:100
	ds_read_b64 v[16:17], v66 offset:3200
	ds_read2_b64 v[12:15], v12 offset0:72 offset1:172
	v_mul_u32_u24_e32 v18, 50, v18
	v_add_lshl_u32 v68, v18, v19, 3
	s_waitcnt lgkmcnt(0)
	s_barrier
	s_waitcnt vmcnt(1)
	v_pk_mul_f32 v[18:19], v[10:11], v[0:1] op_sel:[0,1]
	v_mov_b32_e32 v20, v3
	s_waitcnt vmcnt(0)
	v_pk_mul_f32 v[22:23], v[14:15], v[4:5] op_sel:[0,1]
	v_mov_b32_e32 v24, v7
	v_pk_fma_f32 v[30:31], v[10:11], v[0:1], v[18:19] op_sel:[0,0,1] op_sel_hi:[1,1,0] neg_lo:[0,0,1] neg_hi:[0,0,1]
	v_pk_fma_f32 v[10:11], v[10:11], v[0:1], v[18:19] op_sel:[0,0,1] op_sel_hi:[1,0,0]
	v_pk_mul_f32 v[18:19], v[12:13], v[20:21] op_sel_hi:[1,0]
	v_pk_fma_f32 v[20:21], v[14:15], v[4:5], v[22:23] op_sel:[0,0,1] op_sel_hi:[1,1,0] neg_lo:[0,0,1] neg_hi:[0,0,1]
	v_pk_fma_f32 v[14:15], v[14:15], v[4:5], v[22:23] op_sel:[0,0,1] op_sel_hi:[1,0,0]
	v_pk_mul_f32 v[22:23], v[16:17], v[24:25] op_sel_hi:[1,0]
	v_mov_b32_e32 v31, v11
	v_pk_fma_f32 v[10:11], v[12:13], v[2:3], v[18:19] op_sel:[0,0,1] op_sel_hi:[1,1,0] neg_lo:[0,0,1] neg_hi:[0,0,1]
	v_pk_fma_f32 v[12:13], v[12:13], v[2:3], v[18:19] op_sel:[0,0,1] op_sel_hi:[1,0,0]
	v_mov_b32_e32 v21, v15
	v_pk_fma_f32 v[14:15], v[16:17], v[6:7], v[22:23] op_sel:[0,0,1] op_sel_hi:[1,1,0] neg_lo:[0,0,1] neg_hi:[0,0,1]
	v_pk_fma_f32 v[16:17], v[16:17], v[6:7], v[22:23] op_sel:[0,0,1] op_sel_hi:[1,0,0]
	v_mov_b32_e32 v11, v13
	v_mov_b32_e32 v15, v17
	v_pk_add_f32 v[12:13], v[8:9], v[30:31]
	v_pk_add_f32 v[16:17], v[10:11], v[20:21]
	;; [unrolled: 1-line block ×3, first 2 shown]
	v_pk_add_f32 v[18:19], v[30:31], v[14:15] neg_lo:[0,1] neg_hi:[0,1]
	v_pk_add_f32 v[22:23], v[10:11], v[20:21] neg_lo:[0,1] neg_hi:[0,1]
	;; [unrolled: 1-line block ×5, first 2 shown]
	v_pk_add_f32 v[10:11], v[12:13], v[10:11]
	v_pk_fma_f32 v[12:13], v[16:17], 0.5, v[8:9] op_sel_hi:[1,0,1] neg_lo:[1,0,0] neg_hi:[1,0,0]
	v_pk_fma_f32 v[8:9], v[38:39], 0.5, v[8:9] op_sel_hi:[1,0,1] neg_lo:[1,0,0] neg_hi:[1,0,0]
	v_pk_add_f32 v[40:41], v[20:21], v[14:15] neg_lo:[0,1] neg_hi:[0,1]
	v_pk_add_f32 v[16:17], v[24:25], v[36:37]
	v_pk_add_f32 v[10:11], v[10:11], v[20:21]
	v_pk_fma_f32 v[20:21], v[18:19], s[14:15], v[12:13] op_sel:[1,0,0] op_sel_hi:[0,0,1]
	v_pk_fma_f32 v[12:13], v[18:19], s[14:15], v[12:13] op_sel:[1,0,0] op_sel_hi:[0,0,1] neg_lo:[1,0,0] neg_hi:[1,0,0]
	v_pk_fma_f32 v[24:25], v[22:23], s[14:15], v[8:9] op_sel:[1,0,0] op_sel_hi:[0,0,1] neg_lo:[1,0,0] neg_hi:[1,0,0]
	v_pk_fma_f32 v[8:9], v[22:23], s[14:15], v[8:9] op_sel:[1,0,0] op_sel_hi:[0,0,1]
	v_pk_add_f32 v[36:37], v[10:11], v[14:15]
	v_pk_fma_f32 v[10:11], v[22:23], s[10:11], v[12:13] op_sel:[1,0,0] op_sel_hi:[0,0,1] neg_lo:[1,0,0] neg_hi:[1,0,0]
	v_pk_fma_f32 v[12:13], v[22:23], s[10:11], v[20:21] op_sel:[1,0,0] op_sel_hi:[0,0,1]
	v_pk_fma_f32 v[8:9], v[18:19], s[10:11], v[8:9] op_sel:[1,0,0] op_sel_hi:[0,0,1] neg_lo:[1,0,0] neg_hi:[1,0,0]
	v_pk_fma_f32 v[14:15], v[18:19], s[10:11], v[24:25] op_sel:[1,0,0] op_sel_hi:[0,0,1]
	v_pk_add_f32 v[30:31], v[30:31], v[40:41]
	v_mov_b32_e32 v18, v12
	v_mov_b32_e32 v19, v11
	;; [unrolled: 1-line block ×6, first 2 shown]
	v_pk_fma_f32 v[38:39], v[16:17], s[6:7], v[18:19] op_sel_hi:[1,0,1]
	v_pk_fma_f32 v[24:25], v[16:17], s[6:7], v[10:11] op_sel_hi:[1,0,1]
	;; [unrolled: 1-line block ×4, first 2 shown]
	ds_write2_b64 v68, v[36:37], v[38:39] offset1:10
	ds_write2_b64 v68, v[40:41], v[42:43] offset0:20 offset1:30
	ds_write_b64 v68, v[24:25] offset:320
	s_waitcnt lgkmcnt(0)
	s_barrier
	s_and_saveexec_b64 s[6:7], vcc
	s_cbranch_execz .LBB0_9
; %bb.8:
	ds_read2_b64 v[36:39], v66 offset1:50
	ds_read2_b64 v[40:43], v66 offset0:100 offset1:150
	v_add_u32_e32 v8, 0x800, v66
	ds_read2_b64 v[28:31], v8 offset0:144 offset1:194
	ds_read2_b64 v[24:27], v66 offset0:200 offset1:250
	;; [unrolled: 1-line block ×3, first 2 shown]
	s_waitcnt lgkmcnt(2)
	v_mov_b32_e32 v48, v31
	v_mov_b32_e32 v49, v30
.LBB0_9:
	s_or_b64 exec, exec, s[6:7]
	v_subrev_u32_e32 v8, 50, v45
	v_cndmask_b32_e32 v8, v8, v45, vcc
	v_mul_hi_i32_i24_e32 v9, 0x48, v8
	v_mul_i32_i24_e32 v8, 0x48, v8
	v_lshl_add_u64 v[30:31], s[4:5], 0, v[8:9]
	global_load_dwordx4 v[8:11], v[30:31], off offset:320
	global_load_dwordx4 v[20:23], v[30:31], off offset:336
	;; [unrolled: 1-line block ×4, first 2 shown]
	global_load_dwordx2 v[46:47], v[30:31], off offset:384
	v_mov_b32_e32 v30, v41
	s_waitcnt lgkmcnt(1)
	v_mov_b32_e32 v52, v25
	v_mov_b32_e32 v56, v49
	;; [unrolled: 1-line block ×4, first 2 shown]
	s_mov_b32 s4, 0x3f737871
	s_mov_b32 s5, 0xbf737871
	;; [unrolled: 1-line block ×5, first 2 shown]
	v_mov_b32_e32 v54, v27
	s_mov_b32 s14, 0x3f4f1bbd
	s_waitcnt vmcnt(4)
	v_pk_mul_f32 v[60:61], v[40:41], v[10:11]
	s_nop 0
	v_mov_b32_e32 v60, v11
	s_waitcnt vmcnt(2) lgkmcnt(0)
	v_pk_mul_f32 v[64:65], v[32:33], v[18:19] op_sel:[1,0]
	s_waitcnt vmcnt(1)
	v_pk_mul_f32 v[70:71], v[34:35], v[12:13] op_sel:[1,0]
	v_pk_mul_f32 v[72:73], v[28:29], v[14:15] op_sel:[1,0]
	v_pk_mul_f32 v[74:75], v[24:25], v[22:23]
	v_pk_fma_f32 v[82:83], v[32:33], v[18:19], v[64:65] op_sel:[0,0,1] op_sel_hi:[0,1,0] neg_lo:[0,0,1] neg_hi:[0,0,1]
	v_pk_fma_f32 v[32:33], v[32:33], v[18:19], v[64:65] op_sel:[0,0,1] op_sel_hi:[0,1,0]
	v_pk_fma_f32 v[64:65], v[34:35], v[12:13], v[70:71] op_sel:[0,0,1] op_sel_hi:[0,1,0] neg_lo:[0,0,1] neg_hi:[0,0,1]
	v_pk_fma_f32 v[34:35], v[34:35], v[12:13], v[70:71] op_sel:[0,0,1] op_sel_hi:[0,1,0]
	;; [unrolled: 2-line block ×3, first 2 shown]
	v_pk_mul_f32 v[62:63], v[42:43], v[20:21]
	v_mov_b32_e32 v74, v23
	v_mov_b32_e32 v28, v61
	v_pk_mul_f32 v[60:61], v[40:41], v[60:61]
	v_mov_b32_e32 v72, v75
	v_mov_b32_e32 v62, v21
	s_waitcnt vmcnt(0)
	v_pk_mul_f32 v[48:49], v[48:49], v[46:47] op_sel_hi:[0,1]
	v_mov_b32_e32 v34, v63
	v_pk_mul_f32 v[74:75], v[24:25], v[74:75]
	v_pk_fma_f32 v[24:25], v[24:25], v[22:23], v[72:73] neg_lo:[0,0,1] neg_hi:[0,0,1]
	v_pk_fma_f32 v[30:31], v[30:31], v[10:11], v[60:61]
	v_mov_b32_e32 v78, v9
	v_pk_mul_f32 v[80:81], v[38:39], v[8:9]
	v_pk_mul_f32 v[62:63], v[42:43], v[62:63]
	v_pk_fma_f32 v[84:85], v[56:57], v[46:47], v[48:49] op_sel:[0,0,1] op_sel_hi:[0,1,0] neg_lo:[0,0,1] neg_hi:[0,0,1]
	v_pk_fma_f32 v[48:49], v[56:57], v[46:47], v[48:49] op_sel:[0,0,1] op_sel_hi:[0,1,0]
	v_pk_fma_f32 v[40:41], v[40:41], v[10:11], v[28:29] neg_lo:[0,0,1] neg_hi:[0,0,1]
	v_pk_fma_f32 v[42:43], v[42:43], v[20:21], v[34:35] neg_lo:[0,0,1] neg_hi:[0,0,1]
	v_pk_fma_f32 v[52:53], v[52:53], v[22:23], v[74:75]
	v_mov_b32_e32 v71, v29
	v_add_f32_e32 v34, v30, v29
	v_pk_add_f32 v[28:29], v[24:25], v[82:83]
	v_pk_mul_f32 v[56:57], v[38:39], v[78:79]
	v_mov_b32_e32 v48, v81
	v_mov_b32_e32 v29, v52
	v_pk_fma_f32 v[56:57], v[58:59], v[8:9], v[56:57]
	v_pk_fma_f32 v[38:39], v[38:39], v[8:9], v[48:49] neg_lo:[0,0,1] neg_hi:[0,0,1]
	v_mov_b32_e32 v59, v33
	v_pk_add_f32 v[32:33], v[28:29], v[32:33]
	v_mov_b32_e32 v41, v30
	v_add_f32_e32 v39, v40, v70
	v_mov_b32_e32 v29, v33
	v_mov_b32_e32 v58, v82
	v_mov_b32_e32 v25, v52
	v_mul_f32_e32 v52, 0.5, v39
	v_mul_f32_e32 v53, 0.5, v34
	v_pk_add_f32 v[74:75], v[40:41], v[70:71] neg_lo:[0,1] neg_hi:[0,1]
	v_pk_fma_f32 v[28:29], v[28:29], 0.5, v[36:37] op_sel_hi:[1,0,1] neg_lo:[1,0,0] neg_hi:[1,0,0]
	v_pk_fma_f32 v[50:51], v[50:51], v[20:21], v[62:63]
	v_pk_add_f32 v[62:63], v[24:25], v[58:59] neg_lo:[0,1] neg_hi:[0,1]
	v_pk_add_f32 v[32:33], v[36:37], v[52:53] neg_lo:[0,1] neg_hi:[0,1]
	v_pk_fma_f32 v[52:53], v[74:75], s[4:5], v[28:29] op_sel:[1,0,0] op_sel_hi:[0,0,1]
	v_pk_fma_f32 v[28:29], v[74:75], s[4:5], v[28:29] op_sel:[1,0,0] op_sel_hi:[0,0,1] neg_lo:[1,0,0] neg_hi:[1,0,0]
	v_pk_add_f32 v[30:31], v[70:71], v[58:59] neg_lo:[0,1] neg_hi:[0,1]
	v_pk_add_f32 v[72:73], v[40:41], v[24:25] neg_lo:[0,1] neg_hi:[0,1]
	v_pk_fma_f32 v[28:29], v[62:63], s[6:7], v[28:29] op_sel:[1,0,0] op_sel_hi:[0,0,1] neg_lo:[1,0,0] neg_hi:[1,0,0]
	v_pk_fma_f32 v[52:53], v[62:63], s[6:7], v[52:53] op_sel:[1,0,0] op_sel_hi:[0,0,1]
	v_pk_mul_f32 v[76:77], v[26:27], v[16:17]
	v_pk_add_f32 v[60:61], v[36:37], v[40:41]
	v_pk_add_f32 v[30:31], v[72:73], v[30:31]
	v_pk_fma_f32 v[36:37], v[62:63], s[4:5], v[32:33] op_sel:[1,0,0] op_sel_hi:[0,0,1] neg_lo:[1,0,0] neg_hi:[1,0,0]
	v_pk_fma_f32 v[32:33], v[62:63], s[4:5], v[32:33] op_sel:[1,0,0] op_sel_hi:[0,0,1]
	v_mov_b32_e32 v62, v52
	v_mov_b32_e32 v63, v29
	;; [unrolled: 1-line block ×4, first 2 shown]
	v_pk_fma_f32 v[52:53], v[30:31], s[10:11], v[62:63] op_sel_hi:[1,0,1]
	v_pk_fma_f32 v[62:63], v[30:31], s[10:11], v[28:29] op_sel_hi:[1,0,1]
	v_pk_fma_f32 v[30:31], v[74:75], s[6:7], v[36:37] op_sel:[1,0,0] op_sel_hi:[0,0,1]
	v_pk_add_f32 v[36:37], v[60:61], v[24:25]
	v_mov_b32_e32 v80, v77
	v_pk_mul_f32 v[76:77], v[26:27], v[76:77]
	v_pk_fma_f32 v[28:29], v[74:75], s[6:7], v[32:33] op_sel:[1,0,0] op_sel_hi:[0,0,1] neg_lo:[1,0,0] neg_hi:[1,0,0]
	v_pk_add_f32 v[36:37], v[36:37], v[58:59]
	v_pk_add_f32 v[24:25], v[24:25], v[40:41] neg_lo:[0,1] neg_hi:[0,1]
	v_pk_add_f32 v[58:59], v[58:59], v[70:71] neg_lo:[0,1] neg_hi:[0,1]
	v_pk_fma_f32 v[26:27], v[26:27], v[16:17], v[80:81] neg_lo:[0,0,1] neg_hi:[0,0,1]
	v_pk_fma_f32 v[54:55], v[54:55], v[16:17], v[76:77]
	v_mov_b32_e32 v40, v30
	v_mov_b32_e32 v41, v29
	v_pk_add_f32 v[24:25], v[24:25], v[58:59]
	v_mov_b32_e32 v29, v31
	v_mov_b32_e32 v34, v49
	;; [unrolled: 1-line block ×3, first 2 shown]
	v_pk_fma_f32 v[40:41], v[24:25], s[10:11], v[40:41] op_sel_hi:[1,0,1]
	v_pk_fma_f32 v[58:59], v[24:25], s[10:11], v[28:29] op_sel_hi:[1,0,1]
	v_add_f32_e32 v24, v26, v64
	v_add_f32_e32 v25, v54, v35
	v_mov_b32_e32 v28, v42
	v_mov_b32_e32 v29, v50
	v_pk_add_f32 v[30:31], v[42:43], v[84:85]
	v_pk_add_f32 v[60:61], v[50:51], v[34:35]
	v_pk_add_f32 v[32:33], v[42:43], v[26:27] neg_lo:[0,1] neg_hi:[0,1]
	v_mov_b32_e32 v65, v35
	v_mul_f32_e32 v24, 0.5, v24
	v_mul_f32_e32 v25, 0.5, v25
	v_mov_b32_e32 v39, v56
	v_mov_b32_e32 v61, v30
	v_pk_add_f32 v[30:31], v[28:29], v[48:49] neg_lo:[0,1] neg_hi:[0,1]
	v_mov_b32_e32 v57, v38
	v_mov_b32_e32 v27, v54
	v_pk_add_f32 v[36:37], v[36:37], v[70:71]
	v_pk_add_f32 v[24:25], v[38:39], v[24:25] neg_lo:[0,1] neg_hi:[0,1]
	v_pk_fma_f32 v[56:57], v[60:61], 0.5, v[56:57] op_sel_hi:[1,0,1] neg_lo:[1,0,0] neg_hi:[1,0,0]
	v_pk_mul_f32 v[60:61], v[30:31], s[4:5] op_sel_hi:[1,0]
	v_mov_b32_e32 v43, v84
	v_mov_b32_e32 v70, v26
	;; [unrolled: 1-line block ×3, first 2 shown]
	v_pk_add_f32 v[28:29], v[38:39], v[28:29]
	v_pk_add_f32 v[38:39], v[26:27], v[64:65] neg_lo:[0,1] neg_hi:[0,1]
	v_pk_add_f32 v[42:43], v[70:71], v[42:43] neg_lo:[0,1] neg_hi:[0,1]
	v_pk_add_f32 v[70:71], v[24:25], v[60:61] op_sel:[0,1] op_sel_hi:[1,0] neg_lo:[0,1] neg_hi:[0,1]
	v_pk_add_f32 v[26:27], v[28:29], v[26:27]
	v_pk_add_f32 v[24:25], v[24:25], v[60:61] op_sel:[0,1] op_sel_hi:[1,0]
	v_pk_mul_f32 v[28:29], v[38:39], s[6:7] op_sel_hi:[1,0]
	v_pk_add_f32 v[26:27], v[26:27], v[64:65]
	v_pk_add_f32 v[60:61], v[24:25], v[28:29] op_sel:[0,1] op_sel_hi:[1,0]
	v_pk_add_f32 v[28:29], v[70:71], v[28:29] op_sel:[0,1] op_sel_hi:[1,0] neg_lo:[0,1] neg_hi:[0,1]
	v_pk_add_f32 v[72:73], v[26:27], v[48:49]
	v_mov_b32_e32 v61, v29
	v_pk_add_f32 v[28:29], v[50:51], v[54:55] neg_lo:[0,1] neg_hi:[0,1]
	v_pk_add_f32 v[26:27], v[48:49], v[64:65] neg_lo:[0,1] neg_hi:[0,1]
	v_mov_b32_e32 v29, v32
	v_pk_add_f32 v[26:27], v[28:29], v[26:27] op_sel:[0,1] op_sel_hi:[1,0]
	v_mov_b32_e32 v24, v25
	v_pk_mul_f32 v[28:29], v[26:27], s[10:11] op_sel_hi:[1,0]
	v_mov_b32_e32 v25, v70
	v_mov_b32_e32 v34, v43
	v_pk_add_f32 v[28:29], v[28:29], v[60:61] op_sel:[1,0] op_sel_hi:[0,1]
	v_pk_fma_f32 v[60:61], v[38:39], s[6:7], v[24:25] op_sel_hi:[1,0,1]
	v_pk_fma_f32 v[24:25], v[38:39], s[6:7], v[24:25] op_sel_hi:[1,0,1] neg_lo:[1,0,0] neg_hi:[1,0,0]
	v_mov_b32_e32 v55, v35
	v_mov_b32_e32 v51, v49
	v_pk_add_f32 v[42:43], v[42:43], v[34:35]
	v_mov_b32_e32 v61, v25
	v_pk_add_f32 v[34:35], v[54:55], v[50:51] neg_lo:[0,1] neg_hi:[0,1]
	v_pk_fma_f32 v[32:33], v[38:39], s[4:5], v[56:57] op_sel_hi:[1,0,1] neg_lo:[1,0,0] neg_hi:[1,0,0]
	v_pk_fma_f32 v[24:25], v[26:27], s[10:11], v[60:61] op_sel_hi:[1,0,1]
	v_pk_fma_f32 v[26:27], v[38:39], s[4:5], v[56:57] op_sel_hi:[1,0,1]
	v_mov_b32_e32 v39, v34
	v_pk_add_f32 v[34:35], v[38:39], v[34:35]
	v_pk_fma_f32 v[26:27], v[30:31], s[6:7], v[26:27] op_sel_hi:[1,0,1] neg_lo:[1,0,0] neg_hi:[1,0,0]
	v_mov_b32_e32 v43, v35
	v_pk_fma_f32 v[30:31], v[30:31], s[6:7], v[32:33] op_sel_hi:[1,0,1]
	v_pk_mul_f32 v[34:35], v[42:43], s[10:11] op_sel_hi:[1,0]
	v_mov_b32_e32 v32, v31
	v_mov_b32_e32 v31, v27
	;; [unrolled: 1-line block ×3, first 2 shown]
	v_pk_add_f32 v[26:27], v[34:35], v[30:31] op_sel:[1,0] op_sel_hi:[0,1]
	v_pk_mul_f32 v[30:31], v[28:29], s[6:7] op_sel_hi:[1,0]
	v_pk_fma_f32 v[32:33], v[42:43], s[10:11], v[32:33] op_sel_hi:[1,0,1]
	v_pk_fma_f32 v[38:39], v[28:29], s[14:15], v[30:31] op_sel:[0,0,1] op_sel_hi:[1,0,0]
	v_pk_fma_f32 v[28:29], v[28:29], s[14:15], v[30:31] op_sel:[0,0,1] op_sel_hi:[1,0,0] neg_lo:[0,0,1] neg_hi:[0,0,1]
	v_pk_add_f32 v[34:35], v[36:37], v[72:73] neg_lo:[0,1] neg_hi:[0,1]
	v_mov_b32_e32 v39, v29
	v_pk_mul_f32 v[28:29], v[32:33], s[4:5] op_sel_hi:[1,0]
	s_nop 0
	v_pk_fma_f32 v[42:43], v[32:33], s[10:11], v[28:29] op_sel:[0,0,1] op_sel_hi:[1,0,0]
	v_pk_fma_f32 v[28:29], v[32:33], s[10:11], v[28:29] op_sel:[0,0,1] op_sel_hi:[1,0,0] neg_lo:[0,0,1] neg_hi:[0,0,1]
	s_nop 0
	v_mov_b32_e32 v43, v29
	v_pk_mul_f32 v[28:29], v[26:27], s[10:11] op_sel_hi:[1,0]
	s_nop 0
	v_pk_fma_f32 v[48:49], v[26:27], s[4:5], v[28:29] op_sel:[0,0,1] op_sel_hi:[1,1,0] neg_lo:[0,0,1] neg_hi:[0,0,1]
	v_pk_mul_f32 v[26:27], v[24:25], s[14:15] op_sel_hi:[1,0]
	v_pk_add_f32 v[28:29], v[40:41], v[42:43]
	v_pk_fma_f32 v[50:51], v[24:25], s[6:7], v[26:27] op_sel:[0,0,1] op_sel_hi:[1,1,0] neg_lo:[0,0,1] neg_hi:[0,0,1]
	v_pk_add_f32 v[24:25], v[36:37], v[72:73]
	v_pk_add_f32 v[26:27], v[52:53], v[38:39]
	;; [unrolled: 1-line block ×4, first 2 shown]
	v_pk_add_f32 v[36:37], v[52:53], v[38:39] neg_lo:[0,1] neg_hi:[0,1]
	v_pk_add_f32 v[38:39], v[40:41], v[42:43] neg_lo:[0,1] neg_hi:[0,1]
	;; [unrolled: 1-line block ×4, first 2 shown]
	s_and_saveexec_b64 s[4:5], vcc
	s_cbranch_execz .LBB0_11
; %bb.10:
	v_add_u32_e32 v48, 0x800, v66
	ds_write2_b64 v66, v[24:25], v[26:27] offset1:50
	ds_write2_b64 v66, v[28:29], v[30:31] offset0:100 offset1:150
	ds_write2_b64 v66, v[32:33], v[34:35] offset0:200 offset1:250
	;; [unrolled: 1-line block ×4, first 2 shown]
.LBB0_11:
	s_or_b64 exec, exec, s[4:5]
	s_waitcnt lgkmcnt(0)
	s_barrier
	s_and_saveexec_b64 s[4:5], vcc
	s_cbranch_execz .LBB0_13
; %bb.12:
	global_load_dwordx2 v[48:49], v66, s[8:9] offset:4000
	s_add_u32 s6, s8, 0xfa0
	s_addc_u32 s7, s9, 0
	global_load_dwordx2 v[50:51], v66, s[6:7] offset:400
	global_load_dwordx2 v[52:53], v66, s[6:7] offset:800
	;; [unrolled: 1-line block ×9, first 2 shown]
	ds_read_b64 v[72:73], v66
	ds_read_b64 v[74:75], v66 offset:400
	ds_read_b64 v[76:77], v66 offset:800
	ds_read_b64 v[78:79], v66 offset:1200
	ds_read_b64 v[80:81], v66 offset:1600
	ds_read_b64 v[82:83], v66 offset:2000
	ds_read_b64 v[84:85], v66 offset:2400
	ds_read_b64 v[86:87], v66 offset:2800
	ds_read_b64 v[88:89], v66 offset:3200
	ds_read_b64 v[90:91], v66 offset:3600
	s_waitcnt vmcnt(9) lgkmcnt(9)
	v_mul_f32_e32 v69, v73, v49
	v_mul_f32_e32 v93, v72, v49
	v_fma_f32 v92, v72, v48, -v69
	v_fmac_f32_e32 v93, v73, v48
	s_waitcnt vmcnt(8) lgkmcnt(8)
	v_mul_f32_e32 v48, v75, v51
	v_mul_f32_e32 v49, v74, v51
	ds_write_b64 v66, v[92:93]
	s_waitcnt vmcnt(7) lgkmcnt(8)
	v_mul_f32_e32 v69, v77, v53
	v_mul_f32_e32 v51, v76, v53
	s_waitcnt vmcnt(6) lgkmcnt(7)
	v_mul_f32_e32 v72, v79, v55
	v_mul_f32_e32 v53, v78, v55
	;; [unrolled: 3-line block ×8, first 2 shown]
	v_fma_f32 v48, v74, v50, -v48
	v_fmac_f32_e32 v49, v75, v50
	v_fma_f32 v50, v76, v52, -v69
	v_fmac_f32_e32 v51, v77, v52
	;; [unrolled: 2-line block ×9, first 2 shown]
	ds_write_b64 v66, v[48:49] offset:400
	ds_write_b64 v66, v[50:51] offset:800
	;; [unrolled: 1-line block ×9, first 2 shown]
.LBB0_13:
	s_or_b64 exec, exec, s[4:5]
	s_waitcnt lgkmcnt(0)
	s_barrier
	s_and_saveexec_b64 s[4:5], vcc
	s_cbranch_execz .LBB0_15
; %bb.14:
	ds_read2_b64 v[24:27], v66 offset1:50
	ds_read2_b64 v[28:31], v66 offset0:100 offset1:150
	ds_read2_b64 v[32:35], v66 offset0:200 offset1:250
	v_add_u32_e32 v40, 0x800, v66
	ds_read2_b64 v[36:39], v40 offset0:44 offset1:94
	ds_read2_b64 v[40:43], v40 offset0:144 offset1:194
.LBB0_15:
	s_or_b64 exec, exec, s[4:5]
	s_waitcnt lgkmcnt(2)
	v_mov_b32_e32 v62, v34
	s_waitcnt lgkmcnt(1)
	v_mov_b32_e32 v63, v38
	v_mov_b32_e32 v64, v30
	s_waitcnt lgkmcnt(0)
	v_mov_b32_e32 v65, v42
	v_pk_add_f32 v[60:61], v[30:31], v[42:43]
	v_pk_add_f32 v[62:63], v[62:63], v[64:65] neg_lo:[0,1] neg_hi:[0,1]
	v_fma_f32 v69, -0.5, v60, v26
	v_mov_b32_e32 v60, v63
	v_pk_add_f32 v[62:63], v[62:63], v[60:61]
	v_fma_f32 v90, -0.5, v61, v27
	v_mov_b32_e32 v60, v35
	v_mov_b32_e32 v61, v39
	;; [unrolled: 1-line block ×4, first 2 shown]
	v_pk_add_f32 v[60:61], v[60:61], v[64:65] neg_lo:[0,1] neg_hi:[0,1]
	v_pk_add_f32 v[70:71], v[28:29], v[40:41] neg_lo:[0,1] neg_hi:[0,1]
	v_mov_b32_e32 v64, v61
	v_pk_add_f32 v[64:65], v[60:61], v[64:65]
	v_pk_add_f32 v[60:61], v[32:33], v[36:37]
	s_mov_b32 s6, 0x3f737871
	v_pk_fma_f32 v[60:61], v[60:61], 0.5, v[24:25] op_sel_hi:[1,0,1] neg_lo:[1,0,0] neg_hi:[1,0,0]
	v_pk_mul_f32 v[72:73], v[70:71], s[6:7] op_sel_hi:[1,0]
	v_pk_add_f32 v[74:75], v[32:33], v[36:37] neg_lo:[0,1] neg_hi:[0,1]
	s_mov_b32 s10, 0x3f167918
	v_pk_add_f32 v[78:79], v[28:29], v[32:33] neg_lo:[0,1] neg_hi:[0,1]
	v_pk_add_f32 v[80:81], v[40:41], v[36:37] neg_lo:[0,1] neg_hi:[0,1]
	v_pk_mul_f32 v[76:77], v[74:75], s[10:11] op_sel_hi:[1,0]
	v_pk_add_f32 v[78:79], v[78:79], v[80:81]
	v_pk_add_f32 v[80:81], v[60:61], v[72:73] op_sel:[0,1] op_sel_hi:[1,0] neg_lo:[0,1] neg_hi:[0,1]
	v_pk_add_f32 v[60:61], v[60:61], v[72:73] op_sel:[0,1] op_sel_hi:[1,0]
	v_pk_add_f32 v[58:59], v[26:27], v[30:31]
	v_pk_add_f32 v[72:73], v[60:61], v[76:77] op_sel:[0,1] op_sel_hi:[1,0]
	v_pk_add_f32 v[76:77], v[80:81], v[76:77] op_sel:[0,1] op_sel_hi:[1,0] neg_lo:[0,1] neg_hi:[0,1]
	v_pk_add_f32 v[80:81], v[34:35], v[38:39]
	v_pk_add_f32 v[86:87], v[34:35], v[38:39] neg_lo:[0,1] neg_hi:[0,1]
	v_pk_fma_f32 v[26:27], v[80:81], 0.5, v[26:27] op_sel_hi:[1,0,1] neg_lo:[1,0,0] neg_hi:[1,0,0]
	v_pk_add_f32 v[80:81], v[30:31], v[42:43] neg_lo:[0,1] neg_hi:[0,1]
	v_pk_add_f32 v[58:59], v[58:59], v[34:35]
	v_pk_mul_f32 v[82:83], v[80:81], s[6:7] op_sel_hi:[1,0]
	v_pk_mul_f32 v[88:89], v[86:87], s[10:11] op_sel_hi:[1,0]
	v_pk_add_f32 v[84:85], v[26:27], v[82:83] op_sel:[0,1] op_sel_hi:[1,0]
	v_pk_add_f32 v[30:31], v[30:31], v[34:35] neg_lo:[0,1] neg_hi:[0,1]
	v_pk_add_f32 v[34:35], v[42:43], v[38:39] neg_lo:[0,1] neg_hi:[0,1]
	s_mov_b32 s4, 0x3e9e377a
	v_mov_b32_e32 v60, v76
	v_mov_b32_e32 v61, v73
	v_pk_add_f32 v[84:85], v[88:89], v[84:85] op_sel:[1,0] op_sel_hi:[0,1]
	v_pk_add_f32 v[30:31], v[30:31], v[34:35]
	v_pk_add_f32 v[58:59], v[58:59], v[38:39]
	v_pk_fma_f32 v[60:61], v[78:79], s[4:5], v[60:61] op_sel_hi:[1,0,1]
	v_pk_fma_f32 v[34:35], v[30:31], s[4:5], v[84:85] op_sel_hi:[1,0,1]
	v_mov_b32_e32 v63, v81
	s_mov_b32 s5, s10
	v_pk_add_f32 v[26:27], v[26:27], v[82:83] op_sel:[0,1] op_sel_hi:[1,0] neg_lo:[0,1] neg_hi:[0,1]
	v_pk_add_f32 v[58:59], v[58:59], v[42:43]
	v_fmamk_f32 v42, v87, 0x3f737871, v69
	v_pk_mul_f32 v[38:39], v[62:63], s[4:5]
	v_fmac_f32_e32 v69, 0xbf737871, v87
	v_pk_add_f32 v[26:27], v[26:27], v[88:89] op_sel:[0,1] op_sel_hi:[1,0] neg_lo:[0,1] neg_hi:[0,1]
	v_sub_f32_e32 v42, v42, v39
	v_add_f32_e32 v39, v39, v69
	v_mov_b32_e32 v84, v26
	v_mov_b32_e32 v65, v80
	v_add_f32_e32 v42, v38, v42
	v_add_f32_e32 v62, v38, v39
	v_pk_fma_f32 v[82:83], v[30:31], s[4:5], v[84:85] op_sel_hi:[1,0,1]
	v_pk_fma_f32 v[26:27], v[30:31], s[4:5], v[26:27] op_sel_hi:[1,0,1]
	v_fmamk_f32 v38, v86, 0xbf737871, v90
	v_pk_mul_f32 v[30:31], v[64:65], s[4:5]
	v_pk_mul_f32 v[80:81], v[82:83], s[10:11] op_sel_hi:[1,0]
	v_add_f32_e32 v38, v31, v38
	v_pk_add_f32 v[56:57], v[24:25], v[28:29]
	v_add_f32_e32 v64, v30, v38
	v_pk_fma_f32 v[38:39], v[82:83], s[14:15], v[80:81] op_sel:[0,0,1] op_sel_hi:[1,0,0] neg_lo:[0,0,1] neg_hi:[0,0,1]
	v_pk_fma_f32 v[80:81], v[82:83], s[14:15], v[80:81] op_sel:[0,0,1] op_sel_hi:[1,0,0]
	v_pk_add_f32 v[56:57], v[56:57], v[32:33]
	v_mov_b32_e32 v39, v81
	v_pk_add_f32 v[80:81], v[28:29], v[40:41]
	v_pk_add_f32 v[28:29], v[32:33], v[28:29] neg_lo:[0,1] neg_hi:[0,1]
	v_pk_add_f32 v[32:33], v[36:37], v[40:41] neg_lo:[0,1] neg_hi:[0,1]
	v_pk_add_f32 v[56:57], v[56:57], v[36:37]
	v_pk_fma_f32 v[24:25], v[80:81], 0.5, v[24:25] op_sel_hi:[1,0,1] neg_lo:[1,0,0] neg_hi:[1,0,0]
	v_pk_add_f32 v[32:33], v[28:29], v[32:33]
	v_pk_mul_f32 v[28:29], v[74:75], s[6:7] op_sel_hi:[1,0]
	v_pk_add_f32 v[56:57], v[56:57], v[40:41]
	v_pk_mul_f32 v[36:37], v[70:71], s[10:11] op_sel_hi:[1,0]
	v_pk_add_f32 v[40:41], v[24:25], v[28:29] op_sel:[0,1] op_sel_hi:[1,0]
	v_pk_add_f32 v[24:25], v[24:25], v[28:29] op_sel:[0,1] op_sel_hi:[1,0] neg_lo:[0,1] neg_hi:[0,1]
	v_fmac_f32_e32 v90, 0x3f737871, v86
	v_pk_add_f32 v[24:25], v[24:25], v[36:37] op_sel:[0,1] op_sel_hi:[1,0]
	v_pk_add_f32 v[40:41], v[40:41], v[36:37] op_sel:[0,1] op_sel_hi:[1,0] neg_lo:[0,1] neg_hi:[0,1]
	v_sub_f32_e32 v31, v90, v31
	v_mov_b32_e32 v28, v40
	v_mov_b32_e32 v29, v25
	v_add_f32_e32 v30, v30, v31
	v_pk_fma_f32 v[28:29], v[32:33], s[4:5], v[28:29] op_sel_hi:[1,0,1]
	s_mov_b32 s5, s6
	s_mov_b32 s7, s4
	v_mov_b32_e32 v25, v41
	v_pk_fma_f32 v[40:41], v[32:33], s[4:5], v[24:25] op_sel_hi:[1,0,1]
	s_mov_b32 s14, 0xbe9e377a
	s_mov_b32 s15, s6
	v_pk_mul_f32 v[24:25], v[30:31], s[6:7] op_sel_hi:[0,1]
	v_pk_fma_f32 v[62:63], v[62:63], s[14:15], v[24:25] op_sel_hi:[0,1,1] neg_lo:[0,0,1] neg_hi:[0,0,1]
	s_mov_b32 s14, 0xbf4f1bbd
	v_pk_mul_f32 v[64:65], v[64:65], s[6:7] op_sel_hi:[0,1]
	s_mov_b32 s17, s14
	v_pk_fma_f32 v[36:37], v[42:43], s[4:5], v[64:65] neg_lo:[0,0,1] neg_hi:[0,0,1]
	v_pk_fma_f32 v[42:43], v[42:43], s[4:5], v[64:65] op_sel_hi:[0,1,1]
	v_mov_b32_e32 v73, v77
	s_mov_b32 s15, s10
	v_pk_mul_f32 v[24:25], v[26:27], s[16:17] op_sel:[1,0]
	v_mov_b32_e32 v37, v43
	v_pk_fma_f32 v[42:43], v[78:79], s[4:5], v[72:73] op_sel_hi:[1,0,1]
	v_pk_fma_f32 v[64:65], v[34:35], s[14:15], v[24:25] op_sel_hi:[0,1,1]
	v_mov_b32_e32 v48, v0
	v_mov_b32_e32 v49, v0
	;; [unrolled: 1-line block ×12, first 2 shown]
	v_pk_add_f32 v[30:31], v[56:57], v[58:59] neg_lo:[0,1] neg_hi:[0,1]
	v_pk_add_f32 v[24:25], v[60:61], v[38:39] neg_lo:[0,1] neg_hi:[0,1]
	;; [unrolled: 1-line block ×5, first 2 shown]
	s_barrier
	s_and_saveexec_b64 s[14:15], vcc
	s_cbranch_execz .LBB0_17
; %bb.16:
	v_lshlrev_b32_e32 v67, 3, v67
	v_pk_add_f32 v[56:57], v[56:57], v[58:59]
	v_pk_add_f32 v[58:59], v[60:61], v[38:39]
	;; [unrolled: 1-line block ×5, first 2 shown]
	ds_write_b128 v67, v[56:59]
	ds_write_b128 v67, v[36:39] offset:16
	ds_write_b128 v67, v[28:31] offset:32
	;; [unrolled: 1-line block ×4, first 2 shown]
.LBB0_17:
	s_or_b64 exec, exec, s[14:15]
	v_add_u32_e32 v28, 0x400, v66
	s_waitcnt lgkmcnt(0)
	s_barrier
	ds_read2_b64 v[36:39], v28 offset0:72 offset1:172
	ds_read2_b64 v[40:43], v66 offset1:100
	ds_read_b64 v[28:29], v66 offset:3200
	s_waitcnt lgkmcnt(0)
	s_barrier
	v_pk_mul_f32 v[2:3], v[2:3], v[36:37]
	v_pk_mul_f32 v[0:1], v[0:1], v[42:43]
	v_pk_fma_f32 v[56:57], v[54:55], v[36:37], v[2:3] op_sel:[0,0,1] op_sel_hi:[1,1,0]
	v_pk_fma_f32 v[2:3], v[54:55], v[36:37], v[2:3] op_sel:[0,0,1] op_sel_hi:[1,1,0] neg_lo:[0,0,1] neg_hi:[0,0,1]
	v_pk_fma_f32 v[36:37], v[48:49], v[42:43], v[0:1] op_sel:[0,0,1] op_sel_hi:[1,1,0]
	v_mov_b32_e32 v57, v3
	v_pk_mul_f32 v[2:3], v[4:5], v[38:39]
	v_pk_fma_f32 v[0:1], v[48:49], v[42:43], v[0:1] op_sel:[0,0,1] op_sel_hi:[1,1,0] neg_lo:[0,0,1] neg_hi:[0,0,1]
	v_pk_fma_f32 v[4:5], v[52:53], v[38:39], v[2:3] op_sel:[0,0,1] op_sel_hi:[1,1,0]
	v_pk_fma_f32 v[2:3], v[52:53], v[38:39], v[2:3] op_sel:[0,0,1] op_sel_hi:[1,1,0] neg_lo:[0,0,1] neg_hi:[0,0,1]
	v_mov_b32_e32 v37, v1
	v_mov_b32_e32 v5, v3
	v_pk_mul_f32 v[2:3], v[6:7], v[28:29]
	v_pk_add_f32 v[0:1], v[56:57], v[4:5]
	v_pk_fma_f32 v[6:7], v[50:51], v[28:29], v[2:3] op_sel:[0,0,1] op_sel_hi:[1,1,0]
	v_pk_fma_f32 v[2:3], v[50:51], v[28:29], v[2:3] op_sel:[0,0,1] op_sel_hi:[1,1,0] neg_lo:[0,0,1] neg_hi:[0,0,1]
	v_pk_add_f32 v[42:43], v[56:57], v[4:5] neg_lo:[0,1] neg_hi:[0,1]
	v_mov_b32_e32 v7, v3
	v_pk_add_f32 v[38:39], v[36:37], v[6:7] neg_lo:[0,1] neg_hi:[0,1]
	v_pk_fma_f32 v[2:3], v[0:1], 0.5, v[40:41] op_sel_hi:[1,0,1] neg_lo:[1,0,0] neg_hi:[1,0,0]
	v_pk_mul_f32 v[28:29], v[38:39], s[6:7] op_sel_hi:[1,0]
	v_pk_mul_f32 v[48:49], v[42:43], s[10:11] op_sel_hi:[1,0]
	v_pk_add_f32 v[0:1], v[36:37], v[56:57] neg_lo:[0,1] neg_hi:[0,1]
	v_pk_add_f32 v[50:51], v[6:7], v[4:5] neg_lo:[0,1] neg_hi:[0,1]
	v_pk_add_f32 v[52:53], v[2:3], v[28:29] op_sel:[0,1] op_sel_hi:[1,0] neg_lo:[0,1] neg_hi:[0,1]
	v_pk_add_f32 v[2:3], v[2:3], v[28:29] op_sel:[0,1] op_sel_hi:[1,0]
	v_pk_add_f32 v[50:51], v[0:1], v[50:51]
	v_pk_add_f32 v[0:1], v[40:41], v[36:37]
	v_pk_add_f32 v[28:29], v[2:3], v[48:49] op_sel:[0,1] op_sel_hi:[1,0]
	v_pk_add_f32 v[48:49], v[52:53], v[48:49] op_sel:[0,1] op_sel_hi:[1,0] neg_lo:[0,1] neg_hi:[0,1]
	v_pk_add_f32 v[0:1], v[0:1], v[56:57]
	v_mov_b32_e32 v2, v48
	v_mov_b32_e32 v3, v29
	;; [unrolled: 1-line block ×3, first 2 shown]
	v_pk_add_f32 v[48:49], v[36:37], v[6:7]
	v_pk_add_f32 v[0:1], v[0:1], v[4:5]
	v_pk_fma_f32 v[40:41], v[48:49], 0.5, v[40:41] op_sel_hi:[1,0,1] neg_lo:[1,0,0] neg_hi:[1,0,0]
	v_pk_mul_f32 v[42:43], v[42:43], s[6:7] op_sel_hi:[1,0]
	v_pk_add_f32 v[36:37], v[56:57], v[36:37] neg_lo:[0,1] neg_hi:[0,1]
	v_pk_add_f32 v[4:5], v[4:5], v[6:7] neg_lo:[0,1] neg_hi:[0,1]
	v_pk_add_f32 v[0:1], v[0:1], v[6:7]
	v_pk_mul_f32 v[38:39], v[38:39], s[10:11] op_sel_hi:[1,0]
	v_pk_add_f32 v[6:7], v[36:37], v[4:5]
	v_pk_add_f32 v[4:5], v[40:41], v[42:43] op_sel:[0,1] op_sel_hi:[1,0]
	v_pk_add_f32 v[36:37], v[40:41], v[42:43] op_sel:[0,1] op_sel_hi:[1,0] neg_lo:[0,1] neg_hi:[0,1]
	v_pk_fma_f32 v[2:3], v[50:51], s[4:5], v[2:3] op_sel_hi:[1,0,1]
	v_pk_add_f32 v[36:37], v[36:37], v[38:39] op_sel:[0,1] op_sel_hi:[1,0]
	v_pk_add_f32 v[38:39], v[4:5], v[38:39] op_sel:[0,1] op_sel_hi:[1,0] neg_lo:[0,1] neg_hi:[0,1]
	v_mov_b32_e32 v5, v37
	v_mov_b32_e32 v4, v38
	;; [unrolled: 1-line block ×3, first 2 shown]
	v_pk_fma_f32 v[28:29], v[50:51], s[4:5], v[28:29] op_sel_hi:[1,0,1]
	v_pk_fma_f32 v[4:5], v[6:7], s[4:5], v[4:5] op_sel_hi:[1,0,1]
	v_pk_fma_f32 v[6:7], v[6:7], s[4:5], v[36:37] op_sel_hi:[1,0,1]
	ds_write2_b64 v68, v[0:1], v[2:3] offset1:10
	ds_write2_b64 v68, v[4:5], v[6:7] offset0:20 offset1:30
	ds_write_b64 v68, v[28:29] offset:320
	s_waitcnt lgkmcnt(0)
	s_barrier
	s_and_saveexec_b64 s[4:5], vcc
	s_cbranch_execz .LBB0_19
; %bb.18:
	ds_read2_b64 v[0:3], v66 offset1:50
	ds_read2_b64 v[4:7], v66 offset0:100 offset1:150
	ds_read2_b64 v[28:31], v66 offset0:200 offset1:250
	v_add_u32_e32 v32, 0x800, v66
	ds_read2_b64 v[24:27], v32 offset0:44 offset1:94
	ds_read2_b64 v[32:35], v32 offset0:144 offset1:194
.LBB0_19:
	s_or_b64 exec, exec, s[4:5]
	s_and_saveexec_b64 s[4:5], vcc
	s_cbranch_execz .LBB0_21
; %bb.20:
	s_waitcnt lgkmcnt(3)
	v_pk_mul_f32 v[36:37], v[10:11], v[4:5] op_sel:[0,1]
	s_waitcnt lgkmcnt(2)
	v_pk_mul_f32 v[38:39], v[22:23], v[28:29] op_sel:[0,1]
	v_pk_fma_f32 v[58:59], v[10:11], v[4:5], v[36:37] op_sel:[0,0,1] op_sel_hi:[1,1,0]
	v_pk_fma_f32 v[4:5], v[10:11], v[4:5], v[36:37] op_sel:[0,0,1] op_sel_hi:[1,0,0] neg_lo:[1,0,0] neg_hi:[1,0,0]
	s_waitcnt lgkmcnt(0)
	v_pk_mul_f32 v[40:41], v[14:15], v[32:33] op_sel:[0,1]
	v_mov_b32_e32 v59, v5
	v_pk_fma_f32 v[4:5], v[22:23], v[28:29], v[38:39] op_sel:[0,0,1] op_sel_hi:[1,1,0]
	v_pk_fma_f32 v[10:11], v[22:23], v[28:29], v[38:39] op_sel:[0,0,1] op_sel_hi:[1,0,0] neg_lo:[1,0,0] neg_hi:[1,0,0]
	v_pk_mul_f32 v[42:43], v[18:19], v[24:25] op_sel:[0,1]
	v_mov_b32_e32 v5, v11
	v_pk_fma_f32 v[10:11], v[14:15], v[32:33], v[40:41] op_sel:[0,0,1] op_sel_hi:[1,1,0]
	v_pk_fma_f32 v[14:15], v[14:15], v[32:33], v[40:41] op_sel:[0,0,1] op_sel_hi:[1,0,0] neg_lo:[1,0,0] neg_hi:[1,0,0]
	v_pk_mul_f32 v[48:49], v[20:21], v[6:7] op_sel:[0,1]
	v_pk_mul_f32 v[50:51], v[16:17], v[30:31] op_sel:[0,1]
	;; [unrolled: 1-line block ×4, first 2 shown]
	v_mov_b32_e32 v11, v15
	v_pk_fma_f32 v[14:15], v[18:19], v[24:25], v[42:43] op_sel:[0,0,1] op_sel_hi:[1,1,0]
	v_pk_fma_f32 v[18:19], v[18:19], v[24:25], v[42:43] op_sel:[0,0,1] op_sel_hi:[1,0,0] neg_lo:[1,0,0] neg_hi:[1,0,0]
	v_pk_fma_f32 v[22:23], v[46:47], v[34:35], v[52:53] op_sel:[0,0,1] op_sel_hi:[1,1,0]
	v_mov_b32_e32 v15, v19
	v_pk_fma_f32 v[18:19], v[20:21], v[6:7], v[48:49] op_sel:[0,0,1] op_sel_hi:[1,1,0]
	v_pk_fma_f32 v[6:7], v[20:21], v[6:7], v[48:49] op_sel:[0,0,1] op_sel_hi:[1,0,0] neg_lo:[1,0,0] neg_hi:[1,0,0]
	v_pk_fma_f32 v[20:21], v[16:17], v[30:31], v[50:51] op_sel:[0,0,1] op_sel_hi:[1,1,0]
	v_pk_fma_f32 v[28:29], v[12:13], v[26:27], v[54:55] op_sel:[0,0,1] op_sel_hi:[1,1,0]
	v_pk_fma_f32 v[16:17], v[16:17], v[30:31], v[50:51] op_sel:[0,0,1] op_sel_hi:[1,0,0] neg_lo:[1,0,0] neg_hi:[1,0,0]
	v_pk_fma_f32 v[12:13], v[12:13], v[26:27], v[54:55] op_sel:[0,0,1] op_sel_hi:[1,0,0] neg_lo:[1,0,0] neg_hi:[1,0,0]
	v_mov_b32_e32 v26, v18
	v_mov_b32_e32 v27, v22
	v_mov_b32_e32 v30, v20
	v_mov_b32_e32 v31, v28
	v_pk_fma_f32 v[24:25], v[46:47], v[34:35], v[52:53] op_sel:[0,0,1] op_sel_hi:[1,0,0] neg_lo:[1,0,0] neg_hi:[1,0,0]
	v_pk_add_f32 v[32:33], v[26:27], v[30:31] neg_lo:[0,1] neg_hi:[0,1]
	v_mov_b32_e32 v24, v7
	v_mov_b32_e32 v6, v33
	;; [unrolled: 1-line block ×3, first 2 shown]
	v_pk_mul_f32 v[56:57], v[8:9], v[2:3] op_sel:[0,1]
	v_mov_b32_e32 v19, v7
	v_mov_b32_e32 v29, v13
	v_pk_add_f32 v[32:33], v[32:33], v[6:7]
	v_pk_add_f32 v[6:7], v[24:25], v[12:13] neg_lo:[0,1] neg_hi:[0,1]
	v_pk_add_f32 v[26:27], v[30:31], v[26:27] neg_lo:[0,1] neg_hi:[0,1]
	;; [unrolled: 1-line block ×3, first 2 shown]
	v_mov_b32_e32 v21, v17
	v_mov_b32_e32 v23, v25
	v_pk_fma_f32 v[36:37], v[8:9], v[2:3], v[56:57] op_sel:[0,0,1] op_sel_hi:[1,0,0]
	v_pk_fma_f32 v[2:3], v[8:9], v[2:3], v[56:57] op_sel:[0,0,1] op_sel_hi:[1,0,0] neg_lo:[1,0,0] neg_hi:[1,0,0]
	v_mov_b32_e32 v30, v27
	v_mov_b32_e32 v24, v13
	v_pk_add_f32 v[34:35], v[20:21], v[28:29]
	v_mov_b32_e32 v37, v3
	v_pk_add_f32 v[8:9], v[18:19], v[22:23] neg_lo:[0,1] neg_hi:[0,1]
	s_mov_b32 s6, 0x3e9e377a
	v_mov_b32_e32 v16, v7
	v_pk_add_f32 v[26:27], v[26:27], v[30:31]
	v_pk_add_f32 v[30:31], v[18:19], v[22:23]
	;; [unrolled: 1-line block ×3, first 2 shown]
	v_pk_add_f32 v[38:39], v[20:21], v[28:29] neg_lo:[0,1] neg_hi:[0,1]
	s_mov_b32 s7, 0x3f167918
	v_pk_add_f32 v[6:7], v[6:7], v[16:17]
	v_fma_f32 v17, -0.5, v35, v3
	v_fmac_f32_e32 v3, -0.5, v31
	v_mov_b32_e32 v13, v8
	v_pk_add_f32 v[18:19], v[36:37], v[18:19]
	v_fma_f32 v34, -0.5, v34, v36
	v_mov_b32_e32 v33, v39
	v_mov_b32_e32 v35, v36
	v_fmamk_f32 v24, v38, 0x3f737871, v3
	v_pk_mul_f32 v[12:13], v[12:13], s[6:7]
	v_fmac_f32_e32 v3, 0xbf737871, v38
	v_pk_add_f32 v[18:19], v[18:19], v[20:21]
	v_fmamk_f32 v2, v9, 0x3f737871, v34
	v_pk_mul_f32 v[32:33], v[32:33], s[6:7]
	v_mov_b32_e32 v7, v38
	v_mov_b32_e32 v27, v9
	v_fmac_f32_e32 v35, -0.5, v30
	v_sub_f32_e32 v24, v24, v13
	v_add_f32_e32 v3, v13, v3
	v_fmac_f32_e32 v34, 0xbf737871, v9
	v_pk_add_f32 v[18:19], v[18:19], v[28:29]
	s_mov_b32 s10, 0x3f737871
	v_add_f32_e32 v2, v33, v2
	v_fmamk_f32 v16, v8, 0xbf737871, v17
	v_pk_mul_f32 v[6:7], v[6:7], s[6:7]
	v_pk_mul_f32 v[26:27], v[26:27], s[6:7]
	v_fmamk_f32 v30, v39, 0xbf737871, v35
	v_add_f32_e32 v24, v12, v24
	v_fmac_f32_e32 v35, 0x3f737871, v39
	v_add_f32_e32 v12, v12, v3
	v_sub_f32_e32 v3, v34, v33
	v_fmac_f32_e32 v17, 0x3f737871, v8
	v_pk_add_f32 v[18:19], v[18:19], v[22:23]
	v_pk_add_f32 v[22:23], v[4:5], v[14:15]
	v_pk_add_f32 v[28:29], v[58:59], v[10:11] neg_lo:[0,1] neg_hi:[0,1]
	v_add_f32_e32 v2, v32, v2
	v_sub_f32_e32 v16, v16, v7
	v_sub_f32_e32 v25, v35, v27
	v_add_f32_e32 v32, v32, v3
	v_add_f32_e32 v3, v7, v17
	v_pk_fma_f32 v[22:23], v[22:23], 0.5, v[0:1] op_sel_hi:[1,0,1] neg_lo:[1,0,0] neg_hi:[1,0,0]
	v_pk_mul_f32 v[34:35], v[28:29], s[10:11] op_sel_hi:[1,0]
	v_pk_add_f32 v[36:37], v[4:5], v[14:15] neg_lo:[0,1] neg_hi:[0,1]
	s_mov_b32 s14, s7
	v_pk_add_f32 v[40:41], v[58:59], v[4:5] neg_lo:[0,1] neg_hi:[0,1]
	v_pk_add_f32 v[42:43], v[10:11], v[14:15] neg_lo:[0,1] neg_hi:[0,1]
	s_mov_b32 s16, 0x3f4f1bbd
	v_add_f32_e32 v16, v6, v16
	v_add_f32_e32 v6, v6, v3
	v_pk_add_f32 v[8:9], v[0:1], v[58:59]
	v_pk_mul_f32 v[38:39], v[36:37], s[14:15] op_sel_hi:[1,0]
	v_pk_add_f32 v[40:41], v[40:41], v[42:43]
	v_pk_add_f32 v[42:43], v[22:23], v[34:35] op_sel:[0,1] op_sel_hi:[1,0] neg_lo:[0,1] neg_hi:[0,1]
	v_pk_add_f32 v[22:23], v[22:23], v[34:35] op_sel:[0,1] op_sel_hi:[1,0]
	s_mov_b32 s18, s7
	s_mov_b32 s19, s16
	v_pk_add_f32 v[8:9], v[8:9], v[4:5]
	v_pk_add_f32 v[22:23], v[22:23], v[38:39] op_sel:[0,1] op_sel_hi:[1,0]
	v_pk_add_f32 v[34:35], v[42:43], v[38:39] op_sel:[0,1] op_sel_hi:[1,0] neg_lo:[0,1] neg_hi:[0,1]
	s_mov_b32 s17, s7
	v_pk_mul_f32 v[6:7], v[6:7], s[18:19] op_sel_hi:[0,1]
	v_pk_add_f32 v[8:9], v[8:9], v[14:15]
	v_mov_b32_e32 v38, v34
	v_mov_b32_e32 v39, v23
	v_pk_fma_f32 v[42:43], v[32:33], s[16:17], v[6:7] neg_lo:[0,0,1] neg_hi:[0,0,1]
	v_pk_fma_f32 v[6:7], v[32:33], s[16:17], v[6:7] op_sel_hi:[0,1,1]
	v_pk_add_f32 v[8:9], v[8:9], v[10:11]
	v_pk_fma_f32 v[38:39], v[40:41], s[6:7], v[38:39] op_sel_hi:[1,0,1]
	v_mov_b32_e32 v43, v7
	v_pk_add_f32 v[20:21], v[8:9], v[18:19]
	v_pk_add_f32 v[6:7], v[38:39], v[42:43]
	ds_write2_b64 v66, v[20:21], v[6:7] offset1:50
	v_pk_add_f32 v[4:5], v[4:5], v[58:59] neg_lo:[0,1] neg_hi:[0,1]
	v_pk_add_f32 v[6:7], v[14:15], v[10:11] neg_lo:[0,1] neg_hi:[0,1]
	v_add_f32_e32 v30, v27, v30
	v_pk_add_f32 v[4:5], v[4:5], v[6:7]
	v_pk_add_f32 v[6:7], v[58:59], v[10:11]
	s_mov_b32 s11, s6
	v_add_f32_e32 v30, v26, v30
	v_add_f32_e32 v26, v26, v25
	v_pk_fma_f32 v[0:1], v[6:7], 0.5, v[0:1] op_sel_hi:[1,0,1] neg_lo:[1,0,0] neg_hi:[1,0,0]
	s_mov_b32 s16, s6
	s_mov_b32 s17, s10
	v_pk_mul_f32 v[6:7], v[12:13], s[10:11] op_sel_hi:[0,1]
	v_pk_fma_f32 v[10:11], v[26:27], s[16:17], v[6:7] neg_lo:[0,0,1] neg_hi:[0,0,1]
	v_pk_fma_f32 v[6:7], v[26:27], s[16:17], v[6:7] op_sel_hi:[0,1,1]
	v_mov_b32_e32 v11, v7
	v_pk_mul_f32 v[6:7], v[36:37], s[10:11] op_sel_hi:[1,0]
	v_pk_mul_f32 v[12:13], v[28:29], s[14:15] op_sel_hi:[1,0]
	v_pk_add_f32 v[14:15], v[0:1], v[6:7] op_sel:[0,1] op_sel_hi:[1,0]
	v_pk_add_f32 v[0:1], v[0:1], v[6:7] op_sel:[0,1] op_sel_hi:[1,0] neg_lo:[0,1] neg_hi:[0,1]
	v_pk_add_f32 v[6:7], v[14:15], v[12:13] op_sel:[0,1] op_sel_hi:[1,0] neg_lo:[0,1] neg_hi:[0,1]
	v_pk_add_f32 v[0:1], v[0:1], v[12:13] op_sel:[0,1] op_sel_hi:[1,0]
	v_mov_b32_e32 v12, v6
	v_mov_b32_e32 v13, v1
	s_mov_b32 s14, 0xbe9e377a
	s_mov_b32 s15, s10
	v_pk_mul_f32 v[20:21], v[24:25], s[10:11] op_sel_hi:[0,1]
	v_mov_b32_e32 v1, v7
	v_pk_fma_f32 v[12:13], v[4:5], s[6:7], v[12:13] op_sel_hi:[1,0,1]
	v_pk_fma_f32 v[20:21], v[30:31], s[14:15], v[20:21] op_sel_hi:[0,1,1] neg_lo:[0,0,1] neg_hi:[0,0,1]
	v_pk_fma_f32 v[0:1], v[4:5], s[6:7], v[0:1] op_sel_hi:[1,0,1]
	v_pk_add_f32 v[14:15], v[12:13], v[10:11]
	v_pk_add_f32 v[4:5], v[0:1], v[20:21]
	ds_write2_b64 v66, v[14:15], v[4:5] offset0:100 offset1:150
	s_mov_b32 s10, 0xbf4f1bbd
	s_mov_b32 s11, s7
	v_pk_mul_f32 v[4:5], v[16:17], s[18:19] op_sel_hi:[0,1]
	v_mov_b32_e32 v23, v35
	v_pk_fma_f32 v[2:3], v[2:3], s[10:11], v[4:5] op_sel_hi:[0,1,1] neg_lo:[0,0,1] neg_hi:[0,0,1]
	v_pk_fma_f32 v[4:5], v[40:41], s[6:7], v[22:23] op_sel_hi:[1,0,1]
	v_pk_add_f32 v[8:9], v[8:9], v[18:19] neg_lo:[0,1] neg_hi:[0,1]
	v_pk_add_f32 v[6:7], v[4:5], v[2:3]
	ds_write2_b64 v66, v[6:7], v[8:9] offset0:200 offset1:250
	v_pk_add_f32 v[6:7], v[38:39], v[42:43] neg_lo:[0,1] neg_hi:[0,1]
	v_pk_add_f32 v[8:9], v[12:13], v[10:11] neg_lo:[0,1] neg_hi:[0,1]
	v_add_u32_e32 v10, 0x800, v66
	v_pk_add_f32 v[0:1], v[0:1], v[20:21] neg_lo:[0,1] neg_hi:[0,1]
	v_pk_add_f32 v[2:3], v[4:5], v[2:3] neg_lo:[0,1] neg_hi:[0,1]
	ds_write2_b64 v10, v[6:7], v[8:9] offset0:44 offset1:94
	ds_write2_b64 v10, v[0:1], v[2:3] offset0:144 offset1:194
.LBB0_21:
	s_or_b64 exec, exec, s[4:5]
	s_waitcnt lgkmcnt(0)
	s_barrier
	s_and_b64 exec, exec, vcc
	s_cbranch_execz .LBB0_23
; %bb.22:
	global_load_dwordx2 v[12:13], v66, s[8:9]
	global_load_dwordx2 v[14:15], v66, s[8:9] offset:400
	global_load_dwordx2 v[16:17], v66, s[8:9] offset:800
	global_load_dwordx2 v[18:19], v66, s[8:9] offset:1200
	global_load_dwordx2 v[24:25], v66, s[8:9] offset:1600
	global_load_dwordx2 v[28:29], v66, s[8:9] offset:2000
	ds_read2_b64 v[0:3], v66 offset1:100
	ds_read2_b64 v[4:7], v66 offset0:50 offset1:150
	ds_read_b64 v[30:31], v66 offset:3200
	ds_read_b64 v[32:33], v66 offset:3600
	global_load_dwordx2 v[34:35], v66, s[8:9] offset:2400
	global_load_dwordx2 v[36:37], v66, s[8:9] offset:2800
	;; [unrolled: 1-line block ×4, first 2 shown]
	v_mad_u64_u32 v[22:23], s[4:5], s2, v44, 0
	v_mad_u64_u32 v[26:27], s[6:7], s0, v45, 0
	v_mov_b32_e32 v42, v23
	v_mov_b32_e32 v47, 0x190
	v_mov_b32_e32 v46, v27
	v_mad_u64_u32 v[42:43], s[6:7], s3, v44, v[42:43]
	v_mov_b32_e32 v20, s12
	v_mov_b32_e32 v21, s13
	v_add_u32_e32 v48, 0x400, v66
	v_mad_u64_u32 v[44:45], s[6:7], s1, v45, v[46:47]
	v_mov_b32_e32 v23, v42
	ds_read2_b64 v[8:11], v48 offset0:72 offset1:172
	v_mov_b32_e32 v27, v44
	v_lshl_add_u64 v[20:21], v[22:23], 3, v[20:21]
	s_mov_b32 s4, 0xd2f1a9fc
	v_lshl_add_u64 v[20:21], v[26:27], 3, v[20:21]
	s_mov_b32 s5, 0x3f60624d
	s_mul_i32 s2, s1, 0x190
	v_mad_u64_u32 v[22:23], s[6:7], s0, v47, v[20:21]
	v_add_u32_e32 v23, s2, v23
	v_mad_u64_u32 v[26:27], s[6:7], s0, v47, v[22:23]
	v_add_u32_e32 v27, s2, v27
	s_waitcnt vmcnt(9) lgkmcnt(4)
	v_mul_f32_e32 v42, v1, v13
	v_mul_f32_e32 v13, v0, v13
	s_waitcnt vmcnt(8) lgkmcnt(3)
	v_mul_f32_e32 v43, v5, v15
	v_mul_f32_e32 v15, v4, v15
	s_waitcnt vmcnt(7)
	v_mul_f32_e32 v44, v3, v17
	v_mul_f32_e32 v17, v2, v17
	v_fmac_f32_e32 v42, v0, v12
	v_fma_f32 v12, v12, v1, -v13
	s_waitcnt vmcnt(6)
	v_mul_f32_e32 v45, v7, v19
	v_mul_f32_e32 v19, v6, v19
	v_fmac_f32_e32 v43, v4, v14
	v_fma_f32 v13, v14, v5, -v15
	v_fmac_f32_e32 v44, v2, v16
	v_fma_f32 v14, v16, v3, -v17
	v_cvt_f64_f32_e32 v[0:1], v42
	v_cvt_f64_f32_e32 v[2:3], v12
	v_fmac_f32_e32 v45, v6, v18
	v_fma_f32 v18, v18, v7, -v19
	v_cvt_f64_f32_e32 v[4:5], v43
	v_cvt_f64_f32_e32 v[6:7], v13
	;; [unrolled: 1-line block ×4, first 2 shown]
	v_mul_f64 v[0:1], v[0:1], s[4:5]
	v_mul_f64 v[2:3], v[2:3], s[4:5]
	;; [unrolled: 1-line block ×6, first 2 shown]
	v_cvt_f32_f64_e32 v0, v[0:1]
	v_cvt_f32_f64_e32 v1, v[2:3]
	;; [unrolled: 1-line block ×6, first 2 shown]
	global_store_dwordx2 v[20:21], v[0:1], off
	global_store_dwordx2 v[22:23], v[2:3], off
	;; [unrolled: 1-line block ×3, first 2 shown]
	s_waitcnt vmcnt(8) lgkmcnt(0)
	v_mul_f32_e32 v0, v9, v25
	v_cvt_f64_f32_e32 v[16:17], v45
	v_cvt_f64_f32_e32 v[18:19], v18
	v_fmac_f32_e32 v0, v8, v24
	v_mul_f64 v[16:17], v[16:17], s[4:5]
	v_mul_f64 v[18:19], v[18:19], s[4:5]
	v_mad_u64_u32 v[4:5], s[6:7], s0, v47, v[26:27]
	v_cvt_f64_f32_e32 v[0:1], v0
	v_cvt_f32_f64_e32 v6, v[16:17]
	v_cvt_f32_f64_e32 v7, v[18:19]
	v_add_u32_e32 v5, s2, v5
	v_mul_f64 v[0:1], v[0:1], s[4:5]
	global_store_dwordx2 v[4:5], v[6:7], off
	v_cvt_f32_f64_e32 v6, v[0:1]
	v_mul_f32_e32 v0, v8, v25
	v_fma_f32 v0, v24, v9, -v0
	v_cvt_f64_f32_e32 v[0:1], v0
	v_mul_f64 v[0:1], v[0:1], s[4:5]
	v_cvt_f32_f64_e32 v7, v[0:1]
	ds_read2_b64 v[0:3], v48 offset0:122 offset1:222
	v_mad_u64_u32 v[4:5], s[6:7], s0, v47, v[4:5]
	v_add_u32_e32 v5, s2, v5
	global_store_dwordx2 v[4:5], v[6:7], off
	s_waitcnt vmcnt(9) lgkmcnt(0)
	v_mul_f32_e32 v6, v1, v29
	v_fmac_f32_e32 v6, v0, v28
	v_mul_f32_e32 v0, v0, v29
	v_fma_f32 v0, v28, v1, -v0
	v_cvt_f64_f32_e32 v[6:7], v6
	v_cvt_f64_f32_e32 v[0:1], v0
	v_mul_f64 v[6:7], v[6:7], s[4:5]
	v_mul_f64 v[0:1], v[0:1], s[4:5]
	v_cvt_f32_f64_e32 v6, v[6:7]
	v_cvt_f32_f64_e32 v7, v[0:1]
	v_mad_u64_u32 v[0:1], s[6:7], s0, v47, v[4:5]
	s_waitcnt vmcnt(8)
	v_mul_f32_e32 v4, v11, v35
	v_fmac_f32_e32 v4, v10, v34
	v_cvt_f64_f32_e32 v[4:5], v4
	v_mul_f64 v[4:5], v[4:5], s[4:5]
	v_cvt_f32_f64_e32 v4, v[4:5]
	v_mul_f32_e32 v5, v10, v35
	v_add_u32_e32 v1, s2, v1
	v_fma_f32 v5, v34, v11, -v5
	global_store_dwordx2 v[0:1], v[6:7], off
	v_cvt_f64_f32_e32 v[6:7], v5
	v_mul_f64 v[6:7], v[6:7], s[4:5]
	v_mad_u64_u32 v[0:1], s[6:7], s0, v47, v[0:1]
	v_cvt_f32_f64_e32 v5, v[6:7]
	v_add_u32_e32 v1, s2, v1
	global_store_dwordx2 v[0:1], v[4:5], off
	s_waitcnt vmcnt(9)
	v_mul_f32_e32 v4, v3, v37
	v_fmac_f32_e32 v4, v2, v36
	v_mul_f32_e32 v2, v2, v37
	v_fma_f32 v2, v36, v3, -v2
	v_cvt_f64_f32_e32 v[4:5], v4
	v_cvt_f64_f32_e32 v[2:3], v2
	v_mul_f64 v[4:5], v[4:5], s[4:5]
	v_mul_f64 v[2:3], v[2:3], s[4:5]
	v_cvt_f32_f64_e32 v4, v[4:5]
	v_cvt_f32_f64_e32 v5, v[2:3]
	s_waitcnt vmcnt(8)
	v_mul_f32_e32 v2, v31, v39
	v_fmac_f32_e32 v2, v30, v38
	v_cvt_f64_f32_e32 v[2:3], v2
	v_mul_f64 v[2:3], v[2:3], s[4:5]
	v_mad_u64_u32 v[0:1], s[6:7], s0, v47, v[0:1]
	v_cvt_f32_f64_e32 v2, v[2:3]
	v_mul_f32_e32 v3, v30, v39
	v_add_u32_e32 v1, s2, v1
	v_fma_f32 v3, v38, v31, -v3
	global_store_dwordx2 v[0:1], v[4:5], off
	v_cvt_f64_f32_e32 v[4:5], v3
	v_mul_f64 v[4:5], v[4:5], s[4:5]
	v_mad_u64_u32 v[0:1], s[6:7], s0, v47, v[0:1]
	v_cvt_f32_f64_e32 v3, v[4:5]
	v_add_u32_e32 v1, s2, v1
	global_store_dwordx2 v[0:1], v[2:3], off
	s_waitcnt vmcnt(9)
	v_mul_f32_e32 v2, v33, v41
	v_fmac_f32_e32 v2, v32, v40
	v_cvt_f64_f32_e32 v[2:3], v2
	v_mul_f64 v[2:3], v[2:3], s[4:5]
	v_cvt_f32_f64_e32 v2, v[2:3]
	v_mul_f32_e32 v3, v32, v41
	v_fma_f32 v3, v40, v33, -v3
	v_cvt_f64_f32_e32 v[4:5], v3
	v_mul_f64 v[4:5], v[4:5], s[4:5]
	v_mad_u64_u32 v[0:1], s[0:1], s0, v47, v[0:1]
	v_cvt_f32_f64_e32 v3, v[4:5]
	v_add_u32_e32 v1, s2, v1
	global_store_dwordx2 v[0:1], v[2:3], off
.LBB0_23:
	s_endpgm
	.section	.rodata,"a",@progbits
	.p2align	6, 0x0
	.amdhsa_kernel bluestein_single_fwd_len500_dim1_sp_op_CI_CI
		.amdhsa_group_segment_fixed_size 4000
		.amdhsa_private_segment_fixed_size 0
		.amdhsa_kernarg_size 104
		.amdhsa_user_sgpr_count 2
		.amdhsa_user_sgpr_dispatch_ptr 0
		.amdhsa_user_sgpr_queue_ptr 0
		.amdhsa_user_sgpr_kernarg_segment_ptr 1
		.amdhsa_user_sgpr_dispatch_id 0
		.amdhsa_user_sgpr_kernarg_preload_length 0
		.amdhsa_user_sgpr_kernarg_preload_offset 0
		.amdhsa_user_sgpr_private_segment_size 0
		.amdhsa_uses_dynamic_stack 0
		.amdhsa_enable_private_segment 0
		.amdhsa_system_sgpr_workgroup_id_x 1
		.amdhsa_system_sgpr_workgroup_id_y 0
		.amdhsa_system_sgpr_workgroup_id_z 0
		.amdhsa_system_sgpr_workgroup_info 0
		.amdhsa_system_vgpr_workitem_id 0
		.amdhsa_next_free_vgpr 97
		.amdhsa_next_free_sgpr 20
		.amdhsa_accum_offset 100
		.amdhsa_reserve_vcc 1
		.amdhsa_float_round_mode_32 0
		.amdhsa_float_round_mode_16_64 0
		.amdhsa_float_denorm_mode_32 3
		.amdhsa_float_denorm_mode_16_64 3
		.amdhsa_dx10_clamp 1
		.amdhsa_ieee_mode 1
		.amdhsa_fp16_overflow 0
		.amdhsa_tg_split 0
		.amdhsa_exception_fp_ieee_invalid_op 0
		.amdhsa_exception_fp_denorm_src 0
		.amdhsa_exception_fp_ieee_div_zero 0
		.amdhsa_exception_fp_ieee_overflow 0
		.amdhsa_exception_fp_ieee_underflow 0
		.amdhsa_exception_fp_ieee_inexact 0
		.amdhsa_exception_int_div_zero 0
	.end_amdhsa_kernel
	.text
.Lfunc_end0:
	.size	bluestein_single_fwd_len500_dim1_sp_op_CI_CI, .Lfunc_end0-bluestein_single_fwd_len500_dim1_sp_op_CI_CI
                                        ; -- End function
	.section	.AMDGPU.csdata,"",@progbits
; Kernel info:
; codeLenInByte = 8076
; NumSgprs: 26
; NumVgprs: 97
; NumAgprs: 0
; TotalNumVgprs: 97
; ScratchSize: 0
; MemoryBound: 0
; FloatMode: 240
; IeeeMode: 1
; LDSByteSize: 4000 bytes/workgroup (compile time only)
; SGPRBlocks: 3
; VGPRBlocks: 12
; NumSGPRsForWavesPerEU: 26
; NumVGPRsForWavesPerEU: 97
; AccumOffset: 100
; Occupancy: 4
; WaveLimiterHint : 1
; COMPUTE_PGM_RSRC2:SCRATCH_EN: 0
; COMPUTE_PGM_RSRC2:USER_SGPR: 2
; COMPUTE_PGM_RSRC2:TRAP_HANDLER: 0
; COMPUTE_PGM_RSRC2:TGID_X_EN: 1
; COMPUTE_PGM_RSRC2:TGID_Y_EN: 0
; COMPUTE_PGM_RSRC2:TGID_Z_EN: 0
; COMPUTE_PGM_RSRC2:TIDIG_COMP_CNT: 0
; COMPUTE_PGM_RSRC3_GFX90A:ACCUM_OFFSET: 24
; COMPUTE_PGM_RSRC3_GFX90A:TG_SPLIT: 0
	.text
	.p2alignl 6, 3212836864
	.fill 256, 4, 3212836864
	.type	__hip_cuid_846316fad0dde52,@object ; @__hip_cuid_846316fad0dde52
	.section	.bss,"aw",@nobits
	.globl	__hip_cuid_846316fad0dde52
__hip_cuid_846316fad0dde52:
	.byte	0                               ; 0x0
	.size	__hip_cuid_846316fad0dde52, 1

	.ident	"AMD clang version 19.0.0git (https://github.com/RadeonOpenCompute/llvm-project roc-6.4.0 25133 c7fe45cf4b819c5991fe208aaa96edf142730f1d)"
	.section	".note.GNU-stack","",@progbits
	.addrsig
	.addrsig_sym __hip_cuid_846316fad0dde52
	.amdgpu_metadata
---
amdhsa.kernels:
  - .agpr_count:     0
    .args:
      - .actual_access:  read_only
        .address_space:  global
        .offset:         0
        .size:           8
        .value_kind:     global_buffer
      - .actual_access:  read_only
        .address_space:  global
        .offset:         8
        .size:           8
        .value_kind:     global_buffer
      - .actual_access:  read_only
        .address_space:  global
        .offset:         16
        .size:           8
        .value_kind:     global_buffer
      - .actual_access:  read_only
        .address_space:  global
        .offset:         24
        .size:           8
        .value_kind:     global_buffer
      - .actual_access:  read_only
        .address_space:  global
        .offset:         32
        .size:           8
        .value_kind:     global_buffer
      - .offset:         40
        .size:           8
        .value_kind:     by_value
      - .address_space:  global
        .offset:         48
        .size:           8
        .value_kind:     global_buffer
      - .address_space:  global
        .offset:         56
        .size:           8
        .value_kind:     global_buffer
      - .address_space:  global
        .offset:         64
        .size:           8
        .value_kind:     global_buffer
      - .address_space:  global
        .offset:         72
        .size:           8
        .value_kind:     global_buffer
      - .offset:         80
        .size:           4
        .value_kind:     by_value
      - .address_space:  global
        .offset:         88
        .size:           8
        .value_kind:     global_buffer
      - .address_space:  global
        .offset:         96
        .size:           8
        .value_kind:     global_buffer
    .group_segment_fixed_size: 4000
    .kernarg_segment_align: 8
    .kernarg_segment_size: 104
    .language:       OpenCL C
    .language_version:
      - 2
      - 0
    .max_flat_workgroup_size: 100
    .name:           bluestein_single_fwd_len500_dim1_sp_op_CI_CI
    .private_segment_fixed_size: 0
    .sgpr_count:     26
    .sgpr_spill_count: 0
    .symbol:         bluestein_single_fwd_len500_dim1_sp_op_CI_CI.kd
    .uniform_work_group_size: 1
    .uses_dynamic_stack: false
    .vgpr_count:     97
    .vgpr_spill_count: 0
    .wavefront_size: 64
amdhsa.target:   amdgcn-amd-amdhsa--gfx950
amdhsa.version:
  - 1
  - 2
...

	.end_amdgpu_metadata
